;; amdgpu-corpus repo=ROCm/rocFFT kind=compiled arch=gfx1201 opt=O3
	.text
	.amdgcn_target "amdgcn-amd-amdhsa--gfx1201"
	.amdhsa_code_object_version 6
	.protected	fft_rtc_back_len121_factors_11_11_wgs_121_tpt_11_half_op_CI_CI_sbcc_twdbase5_3step ; -- Begin function fft_rtc_back_len121_factors_11_11_wgs_121_tpt_11_half_op_CI_CI_sbcc_twdbase5_3step
	.globl	fft_rtc_back_len121_factors_11_11_wgs_121_tpt_11_half_op_CI_CI_sbcc_twdbase5_3step
	.p2align	8
	.type	fft_rtc_back_len121_factors_11_11_wgs_121_tpt_11_half_op_CI_CI_sbcc_twdbase5_3step,@function
fft_rtc_back_len121_factors_11_11_wgs_121_tpt_11_half_op_CI_CI_sbcc_twdbase5_3step: ; @fft_rtc_back_len121_factors_11_11_wgs_121_tpt_11_half_op_CI_CI_sbcc_twdbase5_3step
; %bb.0:
	s_clause 0x1
	s_load_b256 s[4:11], s[0:1], 0x8
	s_load_b64 s[26:27], s[0:1], 0x28
	s_mov_b32 s2, ttmp9
	s_mov_b32 s3, exec_lo
	v_cmpx_gt_u32_e32 0x60, v0
	s_cbranch_execz .LBB0_2
; %bb.1:
	v_lshlrev_b32_e32 v1, 2, v0
	s_wait_kmcnt 0x0
	global_load_b32 v2, v1, s[4:5]
	v_add_nc_u32_e32 v1, 0, v1
	s_wait_loadcnt 0x0
	ds_store_b32 v1, v2 offset:5324
.LBB0_2:
	s_or_b32 exec_lo, exec_lo, s3
	s_mov_b32 s3, 0
	s_wait_kmcnt 0x0
	s_mov_b32 s4, 0x5d161400
	s_movk_i32 s5, 0x54
	s_mov_b32 s12, s3
	s_mov_b32 s13, s3
	s_load_b64 s[28:29], s[8:9], 0x8
	s_add_nc_u64 s[4:5], s[12:13], s[4:5]
	s_mov_b32 s17, s3
	s_add_co_i32 s5, s5, 0x1745d120
	s_mov_b64 s[20:21], 0
	s_mul_u64 s[12:13], s[4:5], -11
	s_delay_alu instid0(SALU_CYCLE_1)
	s_mul_hi_u32 s15, s4, s13
	s_mul_i32 s14, s4, s13
	s_mul_hi_u32 s16, s4, s12
	s_mul_hi_u32 s18, s5, s12
	s_mul_i32 s12, s5, s12
	s_add_nc_u64 s[14:15], s[16:17], s[14:15]
	s_mul_hi_u32 s16, s5, s13
	s_add_co_u32 s12, s14, s12
	s_add_co_ci_u32 s12, s15, s18
	s_add_co_ci_u32 s15, s16, 0
	s_mul_i32 s14, s5, s13
	s_mov_b32 s13, s3
	s_delay_alu instid0(SALU_CYCLE_1) | instskip(SKIP_3) | instid1(VALU_DEP_1)
	s_add_nc_u64 s[12:13], s[12:13], s[14:15]
	s_wait_kmcnt 0x0
	s_add_nc_u64 s[14:15], s[28:29], -1
	v_add_co_u32 v1, s4, s4, s12
	s_cmp_lg_u32 s4, 0
	s_add_co_ci_u32 s17, s5, s13
	s_delay_alu instid0(VALU_DEP_1) | instskip(SKIP_3) | instid1(VALU_DEP_1)
	v_readfirstlane_b32 s16, v1
	s_mul_hi_u32 s5, s14, s17
	s_mul_i32 s4, s14, s17
	s_mov_b32 s13, s3
	s_mul_hi_u32 s12, s14, s16
	s_wait_alu 0xfffe
	s_add_nc_u64 s[4:5], s[12:13], s[4:5]
	s_mul_i32 s13, s15, s16
	s_mul_hi_u32 s16, s15, s16
	s_mul_hi_u32 s12, s15, s17
	s_wait_alu 0xfffe
	s_add_co_u32 s4, s4, s13
	s_add_co_ci_u32 s4, s5, s16
	s_add_co_ci_u32 s13, s12, 0
	s_mul_i32 s12, s15, s17
	s_mov_b32 s5, s3
	s_wait_alu 0xfffe
	s_add_nc_u64 s[4:5], s[4:5], s[12:13]
	s_wait_alu 0xfffe
	s_mul_u64 s[12:13], s[4:5], 11
	s_wait_alu 0xfffe
	v_sub_co_u32 v1, s12, s14, s12
	s_delay_alu instid0(VALU_DEP_1) | instskip(SKIP_1) | instid1(VALU_DEP_1)
	s_cmp_lg_u32 s12, 0
	s_sub_co_ci_u32 s16, s15, s13
	v_sub_co_u32 v2, s14, v1, 11
	s_delay_alu instid0(VALU_DEP_1) | instskip(SKIP_2) | instid1(VALU_DEP_2)
	s_cmp_lg_u32 s14, 0
	v_readfirstlane_b32 s18, v1
	s_sub_co_ci_u32 s14, s16, 0
	v_readfirstlane_b32 s12, v2
	s_delay_alu instid0(VALU_DEP_1)
	s_cmp_gt_u32 s12, 10
	s_add_nc_u64 s[12:13], s[4:5], 1
	s_cselect_b32 s17, -1, 0
	s_wait_alu 0xfffe
	s_cmp_eq_u32 s14, 0
	s_add_nc_u64 s[14:15], s[4:5], 2
	s_cselect_b32 s17, s17, -1
	s_delay_alu instid0(SALU_CYCLE_1)
	s_cmp_lg_u32 s17, 0
	s_wait_alu 0xfffe
	s_cselect_b32 s12, s14, s12
	s_cselect_b32 s13, s15, s13
	s_cmp_gt_u32 s18, 10
	s_cselect_b32 s14, -1, 0
	s_cmp_eq_u32 s16, 0
	s_wait_alu 0xfffe
	s_cselect_b32 s14, s14, -1
	s_wait_alu 0xfffe
	s_cmp_lg_u32 s14, 0
	s_cselect_b32 s5, s13, s5
	s_cselect_b32 s4, s12, s4
	s_wait_alu 0xfffe
	s_add_nc_u64 s[34:35], s[4:5], 1
	s_delay_alu instid0(SALU_CYCLE_1) | instskip(NEXT) | instid1(VALU_DEP_1)
	v_cmp_lt_u64_e64 s4, s[2:3], s[34:35]
	s_and_b32 vcc_lo, exec_lo, s4
	s_cbranch_vccnz .LBB0_4
; %bb.3:
	v_cvt_f32_u32_e32 v1, s34
	s_sub_co_i32 s5, 0, s34
	s_mov_b32 s21, s3
	s_delay_alu instid0(VALU_DEP_1) | instskip(NEXT) | instid1(TRANS32_DEP_1)
	v_rcp_iflag_f32_e32 v1, v1
	v_mul_f32_e32 v1, 0x4f7ffffe, v1
	s_delay_alu instid0(VALU_DEP_1) | instskip(NEXT) | instid1(VALU_DEP_1)
	v_cvt_u32_f32_e32 v1, v1
	v_readfirstlane_b32 s4, v1
	s_wait_alu 0xfffe
	s_delay_alu instid0(VALU_DEP_1)
	s_mul_i32 s5, s5, s4
	s_wait_alu 0xfffe
	s_mul_hi_u32 s5, s4, s5
	s_wait_alu 0xfffe
	s_add_co_i32 s4, s4, s5
	s_wait_alu 0xfffe
	s_mul_hi_u32 s4, s2, s4
	s_wait_alu 0xfffe
	s_mul_i32 s5, s4, s34
	s_add_co_i32 s12, s4, 1
	s_wait_alu 0xfffe
	s_sub_co_i32 s5, s2, s5
	s_wait_alu 0xfffe
	s_sub_co_i32 s13, s5, s34
	s_cmp_ge_u32 s5, s34
	s_cselect_b32 s4, s12, s4
	s_wait_alu 0xfffe
	s_cselect_b32 s5, s13, s5
	s_add_co_i32 s12, s4, 1
	s_wait_alu 0xfffe
	s_cmp_ge_u32 s5, s34
	s_cselect_b32 s20, s12, s4
.LBB0_4:
	s_load_b128 s[16:19], s[10:11], 0x0
	s_load_b128 s[12:15], s[26:27], 0x0
	s_load_b64 s[22:23], s[0:1], 0x0
	v_cmp_lt_u64_e64 s30, s[6:7], 3
	s_mul_u64 s[4:5], s[20:21], s[34:35]
	s_wait_alu 0xfffe
	s_sub_nc_u64 s[4:5], s[2:3], s[4:5]
	s_wait_alu 0xfffe
	s_mul_u64 s[24:25], s[4:5], 11
	s_and_b32 vcc_lo, exec_lo, s30
	s_wait_kmcnt 0x0
	s_mul_u64 s[30:31], s[18:19], s[24:25]
	s_mul_u64 s[4:5], s[14:15], s[24:25]
	s_cbranch_vccnz .LBB0_14
; %bb.5:
	s_add_nc_u64 s[36:37], s[26:27], 16
	s_add_nc_u64 s[38:39], s[10:11], 16
	s_add_nc_u64 s[8:9], s[8:9], 16
	s_mov_b64 s[40:41], 2
	s_mov_b32 s42, 0
.LBB0_6:                                ; =>This Inner Loop Header: Depth=1
	s_load_b64 s[44:45], s[8:9], 0x0
                                        ; implicit-def: $sgpr48_sgpr49
	s_wait_kmcnt 0x0
	s_or_b64 s[46:47], s[20:21], s[44:45]
	s_delay_alu instid0(SALU_CYCLE_1)
	s_mov_b32 s43, s47
	s_mov_b32 s47, -1
	s_cmp_lg_u64 s[42:43], 0
	s_cbranch_scc0 .LBB0_8
; %bb.7:                                ;   in Loop: Header=BB0_6 Depth=1
	s_cvt_f32_u32 s33, s44
	s_cvt_f32_u32 s43, s45
	s_sub_nc_u64 s[50:51], 0, s[44:45]
	s_mov_b32 s47, 0
	s_mov_b32 s55, s42
	s_wait_alu 0xfffe
	s_fmamk_f32 s33, s43, 0x4f800000, s33
	s_wait_alu 0xfffe
	s_delay_alu instid0(SALU_CYCLE_2) | instskip(NEXT) | instid1(TRANS32_DEP_1)
	v_s_rcp_f32 s33, s33
	s_mul_f32 s33, s33, 0x5f7ffffc
	s_wait_alu 0xfffe
	s_delay_alu instid0(SALU_CYCLE_2) | instskip(NEXT) | instid1(SALU_CYCLE_3)
	s_mul_f32 s43, s33, 0x2f800000
	s_trunc_f32 s43, s43
	s_delay_alu instid0(SALU_CYCLE_3) | instskip(SKIP_2) | instid1(SALU_CYCLE_1)
	s_fmamk_f32 s33, s43, 0xcf800000, s33
	s_cvt_u32_f32 s49, s43
	s_wait_alu 0xfffe
	s_cvt_u32_f32 s48, s33
	s_wait_alu 0xfffe
	s_delay_alu instid0(SALU_CYCLE_2)
	s_mul_u64 s[52:53], s[50:51], s[48:49]
	s_wait_alu 0xfffe
	s_mul_hi_u32 s57, s48, s53
	s_mul_i32 s56, s48, s53
	s_mul_hi_u32 s46, s48, s52
	s_mul_i32 s43, s49, s52
	s_add_nc_u64 s[56:57], s[46:47], s[56:57]
	s_mul_hi_u32 s33, s49, s52
	s_mul_hi_u32 s58, s49, s53
	s_add_co_u32 s43, s56, s43
	s_wait_alu 0xfffe
	s_add_co_ci_u32 s54, s57, s33
	s_mul_i32 s52, s49, s53
	s_add_co_ci_u32 s53, s58, 0
	s_wait_alu 0xfffe
	s_add_nc_u64 s[52:53], s[54:55], s[52:53]
	s_wait_alu 0xfffe
	v_add_co_u32 v1, s33, s48, s52
	s_delay_alu instid0(VALU_DEP_1) | instskip(SKIP_1) | instid1(VALU_DEP_1)
	s_cmp_lg_u32 s33, 0
	s_add_co_ci_u32 s49, s49, s53
	v_readfirstlane_b32 s48, v1
	s_mov_b32 s53, s42
	s_wait_alu 0xfffe
	s_delay_alu instid0(VALU_DEP_1)
	s_mul_u64 s[50:51], s[50:51], s[48:49]
	s_wait_alu 0xfffe
	s_mul_hi_u32 s55, s48, s51
	s_mul_i32 s54, s48, s51
	s_mul_hi_u32 s46, s48, s50
	s_mul_i32 s43, s49, s50
	s_add_nc_u64 s[54:55], s[46:47], s[54:55]
	s_mul_hi_u32 s33, s49, s50
	s_mul_hi_u32 s48, s49, s51
	s_add_co_u32 s43, s54, s43
	s_wait_alu 0xfffe
	s_add_co_ci_u32 s52, s55, s33
	s_mul_i32 s50, s49, s51
	s_add_co_ci_u32 s51, s48, 0
	s_wait_alu 0xfffe
	s_add_nc_u64 s[50:51], s[52:53], s[50:51]
	s_wait_alu 0xfffe
	v_add_co_u32 v1, s33, v1, s50
	s_delay_alu instid0(VALU_DEP_1) | instskip(SKIP_1) | instid1(VALU_DEP_1)
	s_cmp_lg_u32 s33, 0
	s_add_co_ci_u32 s33, s49, s51
	v_readfirstlane_b32 s43, v1
	s_wait_alu 0xfffe
	s_mul_hi_u32 s49, s20, s33
	s_mul_i32 s48, s20, s33
	s_mul_hi_u32 s51, s21, s33
	s_mul_i32 s50, s21, s33
	;; [unrolled: 2-line block ×3, first 2 shown]
	s_wait_alu 0xfffe
	s_add_nc_u64 s[48:49], s[46:47], s[48:49]
	s_mul_hi_u32 s43, s21, s43
	s_wait_alu 0xfffe
	s_add_co_u32 s33, s48, s33
	s_add_co_ci_u32 s52, s49, s43
	s_add_co_ci_u32 s51, s51, 0
	s_wait_alu 0xfffe
	s_add_nc_u64 s[48:49], s[52:53], s[50:51]
	s_wait_alu 0xfffe
	s_mul_u64 s[50:51], s[44:45], s[48:49]
	s_add_nc_u64 s[52:53], s[48:49], 1
	s_wait_alu 0xfffe
	v_sub_co_u32 v1, s33, s20, s50
	s_sub_co_i32 s43, s21, s51
	s_cmp_lg_u32 s33, 0
	s_add_nc_u64 s[54:55], s[48:49], 2
	s_delay_alu instid0(VALU_DEP_1) | instskip(SKIP_2) | instid1(VALU_DEP_1)
	v_sub_co_u32 v2, s46, v1, s44
	s_sub_co_ci_u32 s43, s43, s45
	s_cmp_lg_u32 s46, 0
	v_readfirstlane_b32 s46, v2
	s_sub_co_ci_u32 s43, s43, 0
	s_delay_alu instid0(SALU_CYCLE_1) | instskip(SKIP_1) | instid1(VALU_DEP_1)
	s_cmp_ge_u32 s43, s45
	s_cselect_b32 s50, -1, 0
	s_cmp_ge_u32 s46, s44
	s_cselect_b32 s46, -1, 0
	s_cmp_eq_u32 s43, s45
	s_wait_alu 0xfffe
	s_cselect_b32 s43, s46, s50
	s_delay_alu instid0(SALU_CYCLE_1)
	s_cmp_lg_u32 s43, 0
	s_cselect_b32 s43, s54, s52
	s_cselect_b32 s46, s55, s53
	s_cmp_lg_u32 s33, 0
	v_readfirstlane_b32 s33, v1
	s_sub_co_ci_u32 s50, s21, s51
	s_wait_alu 0xfffe
	s_cmp_ge_u32 s50, s45
	s_cselect_b32 s51, -1, 0
	s_cmp_ge_u32 s33, s44
	s_cselect_b32 s33, -1, 0
	s_cmp_eq_u32 s50, s45
	s_wait_alu 0xfffe
	s_cselect_b32 s33, s33, s51
	s_wait_alu 0xfffe
	s_cmp_lg_u32 s33, 0
	s_cselect_b32 s49, s46, s49
	s_cselect_b32 s48, s43, s48
.LBB0_8:                                ;   in Loop: Header=BB0_6 Depth=1
	s_and_not1_b32 vcc_lo, exec_lo, s47
	s_cbranch_vccnz .LBB0_10
; %bb.9:                                ;   in Loop: Header=BB0_6 Depth=1
	v_cvt_f32_u32_e32 v1, s44
	s_sub_co_i32 s43, 0, s44
	s_mov_b32 s49, s42
	s_delay_alu instid0(VALU_DEP_1) | instskip(NEXT) | instid1(TRANS32_DEP_1)
	v_rcp_iflag_f32_e32 v1, v1
	v_mul_f32_e32 v1, 0x4f7ffffe, v1
	s_delay_alu instid0(VALU_DEP_1) | instskip(NEXT) | instid1(VALU_DEP_1)
	v_cvt_u32_f32_e32 v1, v1
	v_readfirstlane_b32 s33, v1
	s_delay_alu instid0(VALU_DEP_1) | instskip(NEXT) | instid1(SALU_CYCLE_1)
	s_mul_i32 s43, s43, s33
	s_mul_hi_u32 s43, s33, s43
	s_delay_alu instid0(SALU_CYCLE_1)
	s_add_co_i32 s33, s33, s43
	s_wait_alu 0xfffe
	s_mul_hi_u32 s33, s20, s33
	s_wait_alu 0xfffe
	s_mul_i32 s43, s33, s44
	s_add_co_i32 s46, s33, 1
	s_sub_co_i32 s43, s20, s43
	s_delay_alu instid0(SALU_CYCLE_1)
	s_sub_co_i32 s47, s43, s44
	s_cmp_ge_u32 s43, s44
	s_cselect_b32 s33, s46, s33
	s_cselect_b32 s43, s47, s43
	s_wait_alu 0xfffe
	s_add_co_i32 s46, s33, 1
	s_cmp_ge_u32 s43, s44
	s_cselect_b32 s48, s46, s33
.LBB0_10:                               ;   in Loop: Header=BB0_6 Depth=1
	s_load_b64 s[46:47], s[38:39], 0x0
	s_load_b64 s[50:51], s[36:37], 0x0
	s_add_nc_u64 s[40:41], s[40:41], 1
	s_mul_u64 s[34:35], s[44:45], s[34:35]
	s_wait_alu 0xfffe
	v_cmp_ge_u64_e64 s33, s[40:41], s[6:7]
	s_mul_u64 s[44:45], s[48:49], s[44:45]
	s_add_nc_u64 s[36:37], s[36:37], 8
	s_wait_alu 0xfffe
	s_sub_nc_u64 s[20:21], s[20:21], s[44:45]
	s_add_nc_u64 s[38:39], s[38:39], 8
	s_add_nc_u64 s[8:9], s[8:9], 8
	s_and_b32 vcc_lo, exec_lo, s33
	s_wait_kmcnt 0x0
	s_wait_alu 0xfffe
	s_mul_u64 s[44:45], s[46:47], s[20:21]
	s_mul_u64 s[20:21], s[50:51], s[20:21]
	s_wait_alu 0xfffe
	s_add_nc_u64 s[30:31], s[44:45], s[30:31]
	s_add_nc_u64 s[4:5], s[20:21], s[4:5]
	s_cbranch_vccnz .LBB0_12
; %bb.11:                               ;   in Loop: Header=BB0_6 Depth=1
	s_mov_b64 s[20:21], s[48:49]
	s_branch .LBB0_6
.LBB0_12:
	v_cmp_lt_u64_e64 s3, s[2:3], s[34:35]
	s_mov_b64 s[20:21], 0
	s_delay_alu instid0(VALU_DEP_1)
	s_and_b32 vcc_lo, exec_lo, s3
	s_cbranch_vccnz .LBB0_14
; %bb.13:
	v_cvt_f32_u32_e32 v1, s34
	s_sub_co_i32 s8, 0, s34
	s_mov_b32 s21, 0
	s_delay_alu instid0(VALU_DEP_1) | instskip(NEXT) | instid1(TRANS32_DEP_1)
	v_rcp_iflag_f32_e32 v1, v1
	v_mul_f32_e32 v1, 0x4f7ffffe, v1
	s_delay_alu instid0(VALU_DEP_1) | instskip(NEXT) | instid1(VALU_DEP_1)
	v_cvt_u32_f32_e32 v1, v1
	v_readfirstlane_b32 s3, v1
	s_delay_alu instid0(VALU_DEP_1) | instskip(NEXT) | instid1(SALU_CYCLE_1)
	s_mul_i32 s8, s8, s3
	s_mul_hi_u32 s8, s3, s8
	s_delay_alu instid0(SALU_CYCLE_1) | instskip(SKIP_4) | instid1(SALU_CYCLE_1)
	s_add_co_i32 s3, s3, s8
	s_wait_alu 0xfffe
	s_mul_hi_u32 s3, s2, s3
	s_wait_alu 0xfffe
	s_mul_i32 s8, s3, s34
	s_sub_co_i32 s2, s2, s8
	s_add_co_i32 s8, s3, 1
	s_wait_alu 0xfffe
	s_sub_co_i32 s9, s2, s34
	s_cmp_ge_u32 s2, s34
	s_cselect_b32 s3, s8, s3
	s_cselect_b32 s2, s9, s2
	s_wait_alu 0xfffe
	s_add_co_i32 s8, s3, 1
	s_cmp_ge_u32 s2, s34
	s_cselect_b32 s20, s8, s3
.LBB0_14:
	v_mul_hi_u32 v20, 0x1745d175, v0
	s_load_b128 s[0:3], s[0:1], 0x60
	s_lshl_b64 s[34:35], s[6:7], 3
	s_add_nc_u64 s[6:7], s[24:25], 11
	v_mov_b32_e32 v1, 0
	s_wait_alu 0xfffe
	v_cmp_le_u64_e64 s9, s[6:7], s[28:29]
	s_mov_b32 s8, 0
	v_add_nc_u32_e32 v18, 44, v20
	v_mul_u32_u24_e32 v2, 11, v20
	v_lshlrev_b32_e32 v23, 2, v20
	v_add_nc_u32_e32 v21, 11, v20
	v_add_nc_u32_e32 v19, 22, v20
	;; [unrolled: 1-line block ×3, first 2 shown]
	v_sub_nc_u32_e32 v22, v0, v2
	v_add_nc_u32_e32 v16, 55, v20
	v_add_nc_u32_e32 v15, 0x42, v20
	;; [unrolled: 1-line block ×4, first 2 shown]
	v_add_co_u32 v2, s6, s24, v22
	s_wait_alu 0xf1ff
	v_add_co_ci_u32_e64 v3, null, s25, 0, s6
	v_mul_lo_u32 v24, 0x1e4, v22
	v_add_nc_u32_e32 v12, 0x63, v20
	v_add_nc_u32_e32 v11, 0x6e, v20
	s_delay_alu instid0(VALU_DEP_4) | instskip(SKIP_2) | instid1(SALU_CYCLE_1)
	v_cmp_gt_u64_e32 vcc_lo, s[28:29], v[2:3]
	s_add_nc_u64 s[6:7], s[26:27], s[34:35]
	s_or_b32 s26, s9, vcc_lo
	s_and_saveexec_b32 s9, s26
	s_cbranch_execz .LBB0_16
; %bb.15:
	v_mad_co_u64_u32 v[2:3], null, s18, v22, 0
	s_add_nc_u64 s[10:11], s[10:11], s[34:35]
	v_mad_co_u64_u32 v[4:5], null, s16, v20, 0
	s_load_b64 s[10:11], s[10:11], 0x0
	v_mad_co_u64_u32 v[6:7], null, s16, v21, 0
	s_delay_alu instid0(VALU_DEP_3) | instskip(SKIP_1) | instid1(VALU_DEP_4)
	v_mov_b32_e32 v0, v3
	v_mad_co_u64_u32 v[30:31], null, s16, v15, 0
	v_mov_b32_e32 v3, v5
	v_mad_co_u64_u32 v[37:38], null, s16, v12, 0
	s_delay_alu instid0(VALU_DEP_4) | instskip(NEXT) | instid1(VALU_DEP_3)
	v_mad_co_u64_u32 v[8:9], null, s19, v22, v[0:1]
	v_mad_co_u64_u32 v[25:26], null, s17, v20, v[3:4]
	v_mov_b32_e32 v0, v7
	s_lshl_b64 s[18:19], s[30:31], 2
	v_mad_co_u64_u32 v[9:10], null, s16, v19, 0
	s_delay_alu instid0(VALU_DEP_4) | instskip(NEXT) | instid1(VALU_DEP_4)
	v_mov_b32_e32 v3, v8
	v_mov_b32_e32 v5, v25
	s_wait_kmcnt 0x0
	s_mul_u64 s[10:11], s[10:11], s[20:21]
	v_mad_co_u64_u32 v[25:26], null, s17, v21, v[0:1]
	s_lshl_b64 s[10:11], s[10:11], 2
	v_lshlrev_b64_e32 v[2:3], 2, v[2:3]
	s_add_nc_u64 s[0:1], s[0:1], s[10:11]
	s_wait_alu 0xfffe
	s_add_nc_u64 s[0:1], s[0:1], s[18:19]
	s_delay_alu instid0(VALU_DEP_1) | instid1(SALU_CYCLE_1)
	v_add_co_u32 v42, vcc_lo, s0, v2
	s_delay_alu instid0(VALU_DEP_2) | instskip(SKIP_1) | instid1(VALU_DEP_1)
	v_add_co_ci_u32_e32 v43, vcc_lo, s1, v3, vcc_lo
	v_mad_co_u64_u32 v[2:3], null, s16, v17, 0
	v_dual_mov_b32 v7, v10 :: v_dual_mov_b32 v0, v3
	s_delay_alu instid0(VALU_DEP_1) | instskip(SKIP_1) | instid1(VALU_DEP_3)
	v_mad_co_u64_u32 v[26:27], null, s17, v19, v[7:8]
	v_mov_b32_e32 v7, v25
	v_mad_co_u64_u32 v[27:28], null, s17, v17, v[0:1]
	v_mad_co_u64_u32 v[28:29], null, s16, v16, 0
	s_delay_alu instid0(VALU_DEP_4) | instskip(SKIP_3) | instid1(VALU_DEP_4)
	v_mov_b32_e32 v10, v26
	v_mad_co_u64_u32 v[25:26], null, s16, v18, 0
	v_lshlrev_b64_e32 v[4:5], 2, v[4:5]
	v_mov_b32_e32 v3, v27
	v_lshlrev_b64_e32 v[8:9], 2, v[9:10]
	s_delay_alu instid0(VALU_DEP_4)
	v_mov_b32_e32 v0, v26
	v_lshlrev_b64_e32 v[6:7], 2, v[6:7]
	v_add_co_u32 v4, vcc_lo, v42, v4
	s_wait_alu 0xfffd
	v_add_co_ci_u32_e32 v5, vcc_lo, v43, v5, vcc_lo
	v_mad_co_u64_u32 v[26:27], null, s17, v18, v[0:1]
	v_mov_b32_e32 v0, v29
	v_add_co_u32 v6, vcc_lo, v42, v6
	v_lshlrev_b64_e32 v[2:3], 2, v[2:3]
	s_wait_alu 0xfffd
	v_add_co_ci_u32_e32 v7, vcc_lo, v43, v7, vcc_lo
	v_mad_co_u64_u32 v[32:33], null, s17, v16, v[0:1]
	v_mov_b32_e32 v0, v31
	v_add_co_u32 v8, vcc_lo, v42, v8
	v_lshlrev_b64_e32 v[25:26], 2, v[25:26]
	s_wait_alu 0xfffd
	v_add_co_ci_u32_e32 v9, vcc_lo, v43, v9, vcc_lo
	v_mov_b32_e32 v29, v32
	v_mad_co_u64_u32 v[34:35], null, s17, v15, v[0:1]
	v_mad_co_u64_u32 v[35:36], null, s16, v13, 0
	;; [unrolled: 1-line block ×3, first 2 shown]
	v_add_co_u32 v2, vcc_lo, v42, v2
	s_delay_alu instid0(VALU_DEP_4)
	v_mov_b32_e32 v31, v34
	v_lshlrev_b64_e32 v[27:28], 2, v[28:29]
	v_mov_b32_e32 v10, v36
	s_wait_alu 0xfffd
	v_add_co_ci_u32_e32 v3, vcc_lo, v43, v3, vcc_lo
	v_mov_b32_e32 v0, v33
	v_lshlrev_b64_e32 v[29:30], 2, v[30:31]
	v_mad_co_u64_u32 v[39:40], null, s17, v13, v[10:11]
	v_mad_co_u64_u32 v[40:41], null, s16, v11, 0
	s_delay_alu instid0(VALU_DEP_4)
	v_mad_co_u64_u32 v[33:34], null, s17, v14, v[0:1]
	v_mov_b32_e32 v0, v38
	v_add_co_u32 v25, vcc_lo, v42, v25
	v_mov_b32_e32 v36, v39
	s_wait_alu 0xfffd
	v_add_co_ci_u32_e32 v26, vcc_lo, v43, v26, vcc_lo
	v_mad_co_u64_u32 v[38:39], null, s17, v12, v[0:1]
	v_mov_b32_e32 v0, v41
	v_lshlrev_b64_e32 v[31:32], 2, v[32:33]
	v_add_co_u32 v27, vcc_lo, v42, v27
	s_wait_alu 0xfffd
	v_add_co_ci_u32_e32 v28, vcc_lo, v43, v28, vcc_lo
	v_mad_co_u64_u32 v[33:34], null, s17, v11, v[0:1]
	v_add_co_u32 v29, vcc_lo, v42, v29
	v_lshlrev_b64_e32 v[34:35], 2, v[35:36]
	s_wait_alu 0xfffd
	v_add_co_ci_u32_e32 v30, vcc_lo, v43, v30, vcc_lo
	v_add_co_u32 v31, vcc_lo, v42, v31
	v_mov_b32_e32 v41, v33
	v_lshlrev_b64_e32 v[36:37], 2, v[37:38]
	s_wait_alu 0xfffd
	v_add_co_ci_u32_e32 v32, vcc_lo, v43, v32, vcc_lo
	v_add_co_u32 v33, vcc_lo, v42, v34
	v_lshlrev_b64_e32 v[38:39], 2, v[40:41]
	s_wait_alu 0xfffd
	v_add_co_ci_u32_e32 v34, vcc_lo, v43, v35, vcc_lo
	v_add_co_u32 v35, vcc_lo, v42, v36
	s_wait_alu 0xfffd
	v_add_co_ci_u32_e32 v36, vcc_lo, v43, v37, vcc_lo
	v_add_co_u32 v37, vcc_lo, v42, v38
	s_wait_alu 0xfffd
	v_add_co_ci_u32_e32 v38, vcc_lo, v43, v39, vcc_lo
	s_clause 0xa
	global_load_b32 v0, v[4:5], off
	global_load_b32 v4, v[6:7], off
	;; [unrolled: 1-line block ×11, first 2 shown]
	v_add3_u32 v26, 0, v24, v23
	s_wait_loadcnt 0x9
	ds_store_2addr_b32 v26, v0, v4 offset1:11
	s_wait_loadcnt 0x7
	ds_store_2addr_b32 v26, v5, v2 offset0:22 offset1:33
	s_wait_loadcnt 0x5
	ds_store_2addr_b32 v26, v3, v6 offset0:44 offset1:55
	;; [unrolled: 2-line block ×4, first 2 shown]
	s_wait_loadcnt 0x0
	ds_store_b32 v26, v25 offset:440
.LBB0_16:
	s_or_b32 exec_lo, exec_lo, s9
	s_wait_kmcnt 0x0
	s_mov_b32 s0, 0x5d161400
	s_movk_i32 s1, 0x54
	s_mov_b32 s9, s8
	s_mov_b32 s19, s8
	s_wait_alu 0xfffe
	s_add_nc_u64 s[0:1], s[8:9], s[0:1]
	s_wait_alu 0xfffe
	s_add_co_i32 s1, s1, 0x1745d120
	s_wait_alu 0xfffe
	s_mul_u64 s[10:11], s[0:1], -11
	s_delay_alu instid0(SALU_CYCLE_1)
	s_mul_hi_u32 s17, s0, s11
	s_mul_i32 s16, s0, s11
	s_mul_hi_u32 s18, s0, s10
	s_mul_hi_u32 s9, s1, s10
	s_mul_i32 s10, s1, s10
	s_wait_alu 0xfffe
	s_add_nc_u64 s[16:17], s[18:19], s[16:17]
	s_mul_hi_u32 s18, s1, s11
	s_wait_alu 0xfffe
	s_add_co_u32 s10, s16, s10
	s_add_co_ci_u32 s10, s17, s9
	s_add_co_ci_u32 s17, s18, 0
	s_mul_i32 s16, s1, s11
	s_mov_b32 s11, s8
	s_wait_alu 0xfffe
	s_add_nc_u64 s[8:9], s[10:11], s[16:17]
	s_delay_alu instid0(SALU_CYCLE_1) | instskip(NEXT) | instid1(VALU_DEP_1)
	v_add_co_u32 v0, s0, s0, s8
	s_cmp_lg_u32 s0, 0
	v_add_co_u32 v26, s0, s24, v20
	s_wait_alu 0xf1ff
	v_add_co_ci_u32_e64 v6, null, s25, 0, s0
	s_add_co_ci_u32 s0, s1, s9
	s_delay_alu instid0(VALU_DEP_2) | instskip(SKIP_3) | instid1(VALU_DEP_2)
	v_mul_hi_u32 v7, v26, v0
	s_wait_alu 0xfffe
	v_mad_co_u64_u32 v[2:3], null, v26, s0, 0
	v_mad_co_u64_u32 v[4:5], null, v6, v0, 0
	v_add_co_u32 v0, vcc_lo, v7, v2
	s_wait_alu 0xfffd
	s_delay_alu instid0(VALU_DEP_3) | instskip(SKIP_1) | instid1(VALU_DEP_3)
	v_add_co_ci_u32_e32 v7, vcc_lo, 0, v3, vcc_lo
	v_mad_co_u64_u32 v[2:3], null, v6, s0, 0
	v_add_co_u32 v0, vcc_lo, v0, v4
	s_wait_alu 0xfffd
	s_delay_alu instid0(VALU_DEP_3)
	v_add_co_ci_u32_e32 v0, vcc_lo, v7, v5, vcc_lo
	s_load_b64 s[0:1], s[6:7], 0x0
	global_wb scope:SCOPE_SE
	s_wait_dscnt 0x0
	v_add_co_ci_u32_e32 v3, vcc_lo, 0, v3, vcc_lo
	v_add_co_u32 v0, vcc_lo, v0, v2
	s_wait_kmcnt 0x0
	s_barrier_signal -1
	s_wait_alu 0xfffd
	v_add_co_ci_u32_e32 v4, vcc_lo, 0, v3, vcc_lo
	v_mad_co_u64_u32 v[2:3], null, v0, 11, 0
	s_barrier_wait -1
	global_inv scope:SCOPE_SE
	s_add_co_i32 s6, 0, 0x14cc
	v_mov_b32_e32 v0, v3
	s_delay_alu instid0(VALU_DEP_1) | instskip(SKIP_2) | instid1(VALU_DEP_2)
	v_mad_co_u64_u32 v[3:4], null, v4, 11, v[0:1]
	v_sub_co_u32 v0, vcc_lo, v26, v2
	s_wait_alu 0xfffd
	v_sub_co_ci_u32_e32 v2, vcc_lo, v6, v3, vcc_lo
	s_delay_alu instid0(VALU_DEP_2) | instskip(SKIP_1) | instid1(VALU_DEP_2)
	v_sub_co_u32 v3, vcc_lo, v0, 11
	s_wait_alu 0xfffd
	v_subrev_co_ci_u32_e32 v4, vcc_lo, 0, v2, vcc_lo
	s_delay_alu instid0(VALU_DEP_2)
	v_cmp_lt_u32_e32 vcc_lo, 10, v3
	s_wait_alu 0xfffd
	v_cndmask_b32_e64 v5, 0, -1, vcc_lo
	v_cmp_lt_u32_e32 vcc_lo, 10, v0
	s_wait_alu 0xfffd
	v_cndmask_b32_e64 v6, 0, -1, vcc_lo
	v_cmp_eq_u32_e32 vcc_lo, 0, v4
	s_wait_alu 0xfffd
	v_cndmask_b32_e32 v4, -1, v5, vcc_lo
	v_cmp_eq_u32_e32 vcc_lo, 0, v2
	s_wait_alu 0xfffd
	v_dual_cndmask_b32 v2, -1, v6 :: v_dual_add_nc_u32 v5, -11, v3
	s_delay_alu instid0(VALU_DEP_3) | instskip(SKIP_1) | instid1(VALU_DEP_2)
	v_cmp_ne_u32_e32 vcc_lo, 0, v4
	s_wait_alu 0xfffd
	v_cndmask_b32_e32 v3, v3, v5, vcc_lo
	s_delay_alu instid0(VALU_DEP_3) | instskip(SKIP_2) | instid1(VALU_DEP_3)
	v_cmp_ne_u32_e32 vcc_lo, 0, v2
	v_lshlrev_b32_e32 v2, 2, v22
	s_wait_alu 0xfffd
	v_cndmask_b32_e32 v0, v0, v3, vcc_lo
	s_delay_alu instid0(VALU_DEP_1) | instskip(NEXT) | instid1(VALU_DEP_1)
	v_mul_u32_u24_e32 v0, 0x79, v0
	v_lshlrev_b32_e32 v0, 2, v0
	s_delay_alu instid0(VALU_DEP_1)
	v_add3_u32 v25, 0, v0, v2
	v_add3_u32 v8, 0, v2, v0
	ds_load_b32 v0, v25
	ds_load_2addr_b32 v[2:3], v8 offset0:11 offset1:22
	ds_load_2addr_b32 v[4:5], v8 offset0:99 offset1:110
	v_mad_co_u64_u32 v[6:7], null, v22, 40, v[8:9]
	ds_load_2addr_b32 v[9:10], v8 offset0:33 offset1:44
	ds_load_2addr_b32 v[27:28], v8 offset0:55 offset1:66
	;; [unrolled: 1-line block ×3, first 2 shown]
	global_wb scope:SCOPE_SE
	s_wait_dscnt 0x0
	s_barrier_signal -1
	s_barrier_wait -1
	global_inv scope:SCOPE_SE
	v_lshrrev_b32_e32 v32, 16, v0
	v_pk_add_f16 v7, v0, v2
	v_pk_add_f16 v33, v4, v3
	v_pk_add_f16 v34, v3, v4 neg_lo:[0,1] neg_hi:[0,1]
	v_pk_add_f16 v31, v5, v2
	v_pk_add_f16 v2, v2, v5 neg_lo:[0,1] neg_hi:[0,1]
	v_pk_add_f16 v3, v7, v3
	v_lshrrev_b32_e32 v39, 16, v33
	v_lshrrev_b32_e32 v38, 16, v34
	;; [unrolled: 1-line block ×4, first 2 shown]
	v_pk_add_f16 v3, v3, v9
	v_pk_mul_f16 v7, 0xb853, v2 op_sel_hi:[0,1]
	v_mul_f16_e32 v49, 0xbbad, v39
	v_mul_f16_e32 v44, 0xb08e, v36
	;; [unrolled: 1-line block ×3, first 2 shown]
	v_pk_add_f16 v3, v3, v10
	v_mul_f16_e32 v42, 0x36a6, v36
	v_mul_f16_e32 v43, 0xbbeb, v35
	v_fmamk_f16 v54, v2, 0x3beb, v44
	v_fmac_f16_e32 v44, 0xbbeb, v2
	v_pk_add_f16 v3, v3, v27
	v_pk_mul_f16 v37, 0xbb47, v34 op_sel_hi:[0,1]
	v_pk_fma_f16 v40, 0x3abb, v31, v7 op_sel:[0,0,1] op_sel_hi:[0,1,0]
	v_pk_fma_f16 v7, 0x3abb, v31, v7 op_sel:[0,0,1] op_sel_hi:[0,1,0] neg_lo:[0,0,1] neg_hi:[0,0,1]
	v_mul_f16_e32 v36, 0xb93d, v36
	v_pk_add_f16 v3, v3, v28
	v_mul_f16_e32 v46, 0xba0c, v38
	v_mul_f16_e32 v47, 0xb93d, v39
	;; [unrolled: 1-line block ×3, first 2 shown]
	v_fmamk_f16 v51, v31, 0x36a6, v41
	v_pk_add_f16 v3, v3, v29
	v_fmamk_f16 v52, v2, 0x3b47, v42
	v_fma_f16 v41, v31, 0x36a6, -v41
	v_fmac_f16_e32 v42, 0xbb47, v2
	v_fmamk_f16 v53, v31, 0xb08e, v43
	v_pk_add_f16 v3, v3, v30
	v_fma_f16 v43, v31, 0xb08e, -v43
	v_fmamk_f16 v61, v34, 0xb482, v49
	v_add_f16_e32 v44, v32, v44
	v_fmac_f16_e32 v49, 0x3482, v34
	v_pk_add_f16 v3, v3, v4
	v_mul_f16_e32 v35, 0xba0c, v35
	v_pk_fma_f16 v45, 0x36a6, v33, v37 op_sel:[0,0,1] op_sel_hi:[0,1,0]
	v_pk_fma_f16 v37, 0x36a6, v33, v37 op_sel:[0,0,1] op_sel_hi:[0,1,0] neg_lo:[0,0,1] neg_hi:[0,0,1]
	v_mul_f16_e32 v39, 0xb08e, v39
	v_pk_add_f16 v3, v3, v5
	v_pk_add_f16 v5, v9, v30 neg_lo:[0,1] neg_hi:[0,1]
	v_bfi_b32 v50, 0xffff, v40, v7
	v_fmamk_f16 v56, v2, 0x3a0c, v36
	v_fmamk_f16 v58, v33, 0xb93d, v46
	;; [unrolled: 1-line block ×3, first 2 shown]
	v_fma_f16 v46, v33, 0xb93d, -v46
	v_fmac_f16_e32 v47, 0xba0c, v34
	v_fmamk_f16 v60, v33, 0xbbad, v48
	v_fma_f16 v48, v33, 0xbbad, -v48
	v_add_f16_e32 v41, v0, v41
	v_add_f16_e32 v42, v32, v42
	;; [unrolled: 1-line block ×5, first 2 shown]
	v_pk_add_f16 v9, v30, v9
	v_add_f16_e32 v44, v49, v44
	v_lshrrev_b32_e32 v49, 16, v5
	v_mul_f16_e32 v38, 0x3beb, v38
	v_fmamk_f16 v55, v31, 0xb93d, v35
	v_fma_f16 v35, v31, 0xb93d, -v35
	v_fmac_f16_e32 v36, 0xba0c, v2
	v_bfi_b32 v57, 0xffff, v45, v37
	v_pk_add_f16 v50, v0, v50
	v_add_f16_e32 v51, v0, v51
	v_add_f16_e32 v52, v32, v52
	;; [unrolled: 1-line block ×8, first 2 shown]
	v_fmamk_f16 v48, v34, 0xbbeb, v39
	v_pk_mul_f16 v30, 0xbbeb, v5 op_sel_hi:[0,1]
	v_mul_f16_e32 v53, 0x3482, v49
	v_lshrrev_b32_e32 v54, 16, v9
	v_add_f16_e32 v55, v0, v55
	v_add_f16_e32 v35, v0, v35
	;; [unrolled: 1-line block ×3, first 2 shown]
	v_pk_add_f16 v36, v57, v50
	v_add_f16_e32 v50, v58, v51
	v_add_f16_e32 v51, v59, v52
	v_fmamk_f16 v47, v33, 0xb08e, v38
	v_add_f16_e32 v48, v48, v56
	v_pk_fma_f16 v52, 0xb08e, v9, v30 op_sel:[0,0,1] op_sel_hi:[0,1,0]
	v_pk_fma_f16 v30, 0xb08e, v9, v30 op_sel:[0,0,1] op_sel_hi:[0,1,0] neg_lo:[0,0,1] neg_hi:[0,0,1]
	v_fma_f16 v38, v33, 0xb08e, -v38
	v_fmac_f16_e32 v39, 0x3beb, v34
	v_fmamk_f16 v56, v9, 0xbbad, v53
	v_mul_f16_e32 v57, 0xbbad, v54
	v_add_f16_e32 v47, v47, v55
	v_bfi_b32 v55, 0xffff, v52, v30
	v_add_f16_e32 v35, v38, v35
	v_add_f16_e32 v32, v39, v32
	;; [unrolled: 1-line block ×3, first 2 shown]
	v_fmamk_f16 v39, v5, 0xb482, v57
	v_mul_f16_e32 v50, 0x3b47, v49
	v_pk_add_f16 v36, v55, v36
	v_mul_f16_e32 v55, 0x36a6, v54
	v_fma_f16 v53, v9, 0xbbad, -v53
	v_add_f16_e32 v39, v39, v51
	v_fmamk_f16 v51, v9, 0x36a6, v50
	v_fma_f16 v50, v9, 0x36a6, -v50
	v_fmamk_f16 v56, v5, 0xbb47, v55
	v_mul_f16_e32 v49, 0xb853, v49
	v_add_f16_e32 v41, v53, v41
	v_add_f16_e32 v42, v51, v42
	;; [unrolled: 1-line block ×3, first 2 shown]
	v_pk_add_f16 v50, v10, v29 neg_lo:[0,1] neg_hi:[0,1]
	v_pk_add_f16 v10, v29, v10
	v_add_f16_e32 v46, v56, v46
	v_mul_f16_e32 v51, 0x3abb, v54
	v_fmac_f16_e32 v55, 0x3b47, v5
	v_fmamk_f16 v53, v9, 0x3abb, v49
	v_pk_mul_f16 v29, 0xba0c, v50 op_sel_hi:[0,1]
	v_lshrrev_b32_e32 v56, 16, v10
	v_fmac_f16_e32 v57, 0x3482, v5
	v_fmamk_f16 v54, v5, 0x3853, v51
	v_add_f16_e32 v44, v55, v44
	v_lshrrev_b32_e32 v55, 16, v50
	v_add_f16_e32 v47, v53, v47
	v_pk_fma_f16 v53, 0xb93d, v10, v29 op_sel:[0,0,1] op_sel_hi:[0,1,0]
	v_pk_fma_f16 v29, 0xb93d, v10, v29 op_sel:[0,0,1] op_sel_hi:[0,1,0] neg_lo:[0,0,1] neg_hi:[0,0,1]
	v_fma_f16 v49, v9, 0x3abb, -v49
	v_fmac_f16_e32 v51, 0xb853, v5
	v_mul_f16_e32 v59, 0xb08e, v56
	v_add_f16_e32 v4, v57, v4
	v_add_f16_e32 v48, v54, v48
	v_mul_f16_e32 v54, 0x3beb, v55
	v_bfi_b32 v57, 0xffff, v53, v29
	v_add_f16_e32 v35, v49, v35
	v_add_f16_e32 v32, v51, v32
	v_fmamk_f16 v49, v50, 0xbbeb, v59
	v_mul_f16_e32 v51, 0xb853, v55
	v_fmamk_f16 v58, v10, 0xb08e, v54
	v_pk_add_f16 v36, v57, v36
	v_mul_f16_e32 v57, 0x3abb, v56
	v_fma_f16 v54, v10, 0xb08e, -v54
	v_add_f16_e32 v39, v49, v39
	v_fmamk_f16 v49, v10, 0x3abb, v51
	v_fma_f16 v51, v10, 0x3abb, -v51
	v_add_f16_e32 v38, v58, v38
	v_fmamk_f16 v58, v50, 0x3853, v57
	v_add_f16_e32 v41, v54, v41
	v_add_f16_e32 v42, v49, v42
	v_mul_f16_e32 v49, 0xb482, v55
	v_mul_f16_e32 v54, 0xbbad, v56
	v_add_f16_e32 v43, v51, v43
	v_pk_add_f16 v51, v27, v28 neg_lo:[0,1] neg_hi:[0,1]
	v_fmac_f16_e32 v57, 0xb853, v50
	v_fmamk_f16 v55, v10, 0xbbad, v49
	v_fmamk_f16 v56, v50, 0x3482, v54
	v_pk_add_f16 v27, v28, v27
	v_pk_mul_f16 v28, 0xb482, v51 op_sel_hi:[0,1]
	v_add_f16_e32 v44, v57, v44
	v_lshrrev_b32_e32 v57, 16, v51
	v_fmac_f16_e32 v59, 0x3beb, v50
	v_add_f16_e32 v46, v58, v46
	v_add_f16_e32 v47, v55, v47
	;; [unrolled: 1-line block ×3, first 2 shown]
	v_pk_fma_f16 v55, 0xbbad, v27, v28 op_sel:[0,0,1] op_sel_hi:[0,1,0]
	v_pk_fma_f16 v28, 0xbbad, v27, v28 op_sel:[0,0,1] op_sel_hi:[0,1,0] neg_lo:[0,0,1] neg_hi:[0,0,1]
	v_mul_f16_e32 v56, 0x3853, v57
	v_fma_f16 v49, v10, 0xbbad, -v49
	v_lshrrev_b32_e32 v58, 16, v27
	v_add_f16_e32 v4, v59, v4
	v_fmac_f16_e32 v54, 0xb482, v50
	v_bfi_b32 v59, 0xffff, v55, v28
	v_fmamk_f16 v60, v27, 0x3abb, v56
	v_add_f16_e32 v35, v49, v35
	v_mul_f16_e32 v49, 0x3abb, v58
	v_add_f16_e32 v32, v54, v32
	v_pk_add_f16 v36, v59, v36
	v_add_f16_e32 v38, v60, v38
	v_mul_f16_e32 v54, 0xba0c, v57
	v_fmamk_f16 v59, v51, 0xb853, v49
	v_fma_f16 v56, v27, 0x3abb, -v56
	v_fmac_f16_e32 v49, 0x3853, v51
	v_mul_f16_e32 v60, 0xb93d, v58
	v_fmamk_f16 v61, v27, 0xb93d, v54
	v_fma_f16 v54, v27, 0xb93d, -v54
	v_add_f16_e32 v41, v56, v41
	v_add_f16_e32 v4, v49, v4
	v_fmamk_f16 v49, v51, 0x3a0c, v60
	v_mul_f16_e32 v56, 0x3b47, v57
	v_add_f16_e32 v43, v54, v43
	v_pk_mul_f16 v31, 0xbbad, v31 op_sel_hi:[0,1]
	v_pk_mul_f16 v33, 0x3abb, v33 op_sel_hi:[0,1]
	v_add_f16_e32 v46, v49, v46
	v_mul_f16_e32 v49, 0x36a6, v58
	v_fmamk_f16 v54, v27, 0x36a6, v56
	v_add_f16_e32 v39, v59, v39
	v_add_f16_e32 v42, v61, v42
	v_pk_mul_f16 v9, 0xb93d, v9 op_sel_hi:[0,1]
	v_fmamk_f16 v57, v51, 0xbb47, v49
	v_fmac_f16_e32 v49, 0x3b47, v51
	v_add_f16_e32 v47, v54, v47
	v_pk_fma_f16 v54, 0xb482, v2, v31 op_sel:[0,0,1] op_sel_hi:[0,1,0]
	v_pk_fma_f16 v2, 0xb482, v2, v31 op_sel:[0,0,1] op_sel_hi:[0,1,0] neg_lo:[0,1,0] neg_hi:[0,1,0]
	v_pk_fma_f16 v31, 0x3853, v34, v33 op_sel:[0,0,1] op_sel_hi:[0,1,0]
	v_add_f16_e32 v32, v49, v32
	v_bfi_b32 v7, 0xffff, v7, v40
	v_alignbit_b32 v49, s0, v54, 16
	v_pack_b32_f16 v42, v42, v46
	v_pack_b32_f16 v38, v38, v39
	v_alignbit_b32 v46, s0, v0, 16
	v_pk_add_f16 v2, v0, v2 op_sel:[1,0] op_sel_hi:[0,1]
	v_pk_add_f16 v39, v0, v49
	v_alignbit_b32 v49, s0, v31, 16
	v_pk_fma_f16 v33, 0x3853, v34, v33 op_sel:[0,0,1] op_sel_hi:[0,1,0] neg_lo:[0,1,0] neg_hi:[0,1,0]
	v_pk_fma_f16 v34, 0xba0c, v5, v9 op_sel:[0,0,1] op_sel_hi:[0,1,0]
	v_pk_mul_f16 v10, 0x36a6, v10 op_sel_hi:[0,1]
	v_pk_add_f16 v0, v0, v7
	v_bfi_b32 v7, 0xffff, v37, v45
	v_pk_add_f16 v46, v46, v54
	v_pk_add_f16 v39, v49, v39
	;; [unrolled: 1-line block ×3, first 2 shown]
	v_alignbit_b32 v33, s0, v34, 16
	v_pk_fma_f16 v5, 0xba0c, v5, v9 op_sel:[0,0,1] op_sel_hi:[0,1,0] neg_lo:[0,1,0] neg_hi:[0,1,0]
	v_pk_fma_f16 v9, 0x3b47, v50, v10 op_sel:[0,0,1] op_sel_hi:[0,1,0]
	v_pk_add_f16 v0, v7, v0
	v_bfi_b32 v7, 0xffff, v30, v52
	v_fma_f16 v56, v27, 0x36a6, -v56
	v_pk_add_f16 v31, v31, v46
	v_pk_add_f16 v33, v33, v39
	;; [unrolled: 1-line block ×3, first 2 shown]
	v_alignbit_b32 v5, s0, v9, 16
	v_pk_mul_f16 v27, 0xb08e, v27 op_sel_hi:[0,1]
	v_pk_add_f16 v0, v7, v0
	v_bfi_b32 v7, 0xffff, v29, v53
	v_pk_add_f16 v31, v34, v31
	v_pk_fma_f16 v10, 0x3b47, v50, v10 op_sel:[0,0,1] op_sel_hi:[0,1,0] neg_lo:[0,1,0] neg_hi:[0,1,0]
	v_pk_add_f16 v5, v5, v33
	v_pk_fma_f16 v33, 0xbbeb, v51, v27 op_sel:[0,0,1] op_sel_hi:[0,1,0]
	v_pk_add_f16 v7, v7, v0
	v_mul_lo_u32 v0, v22, 10
	v_pk_add_f16 v2, v10, v2
	v_pk_add_f16 v9, v9, v31
	v_pk_fma_f16 v10, 0xbbeb, v51, v27 op_sel:[0,0,1] op_sel_hi:[0,1,0] neg_lo:[0,1,0] neg_hi:[0,1,0]
	v_alignbit_b32 v27, s0, v33, 16
	v_fmac_f16_e32 v60, 0xba0c, v51
	v_add_f16_e32 v48, v57, v48
	v_pk_add_f16 v9, v33, v9
	v_pk_add_f16 v2, v10, v2
	;; [unrolled: 1-line block ×3, first 2 shown]
	v_add_f16_e32 v44, v60, v44
	v_add_f16_e32 v35, v56, v35
	v_lshlrev_b64_e32 v[0:1], 2, v[0:1]
	v_bfi_b32 v10, 0xffff, v28, v55
	v_pack_b32_f16 v29, v47, v48
	v_alignbit_b32 v9, v9, v2, 16
	v_pack_b32_f16 v2, v5, v2
	v_pack_b32_f16 v5, v43, v44
	;; [unrolled: 1-line block ×3, first 2 shown]
	v_pk_add_f16 v7, v10, v7
	v_pack_b32_f16 v4, v41, v4
	ds_store_2addr_b32 v6, v3, v36 offset1:1
	ds_store_2addr_b32 v6, v38, v42 offset0:2 offset1:3
	ds_store_b32 v6, v29 offset:16
	ds_store_2addr_b32 v6, v2, v9 offset0:5 offset1:6
	ds_store_2addr_b32 v6, v27, v5 offset0:7 offset1:8
	;; [unrolled: 1-line block ×3, first 2 shown]
	v_add_co_u32 v9, vcc_lo, s22, v0
	s_wait_alu 0xfffd
	v_add_co_ci_u32_e32 v10, vcc_lo, s23, v1, vcc_lo
	global_wb scope:SCOPE_SE
	s_wait_dscnt 0x0
	s_barrier_signal -1
	s_barrier_wait -1
	global_inv scope:SCOPE_SE
	s_clause 0x2
	global_load_b128 v[0:3], v[9:10], off
	global_load_b128 v[4:7], v[9:10], off offset:16
	global_load_b64 v[9:10], v[9:10], off offset:32
	v_mul_lo_u32 v27, v22, v26
	v_mul_lo_u32 v36, v26, 11
	ds_load_2addr_b32 v[37:38], v8 offset0:55 offset1:66
	ds_load_2addr_b32 v[39:40], v8 offset0:77 offset1:88
	;; [unrolled: 1-line block ×5, first 2 shown]
	ds_load_b32 v48, v25
	v_add_nc_u32_e32 v29, v27, v36
	s_delay_alu instid0(VALU_DEP_1) | instskip(NEXT) | instid1(VALU_DEP_1)
	v_add_nc_u32_e32 v26, v29, v36
	v_add_nc_u32_e32 v28, v26, v36
	s_wait_dscnt 0x5
	v_lshrrev_b32_e32 v49, 16, v38
	s_wait_dscnt 0x2
	v_lshrrev_b32_e32 v54, 16, v43
	v_lshrrev_b32_e32 v52, 16, v41
	v_add_nc_u32_e32 v32, v28, v36
	v_lshrrev_b32_e32 v55, 16, v44
	s_wait_dscnt 0x1
	v_lshrrev_b32_e32 v56, 16, v45
	s_wait_dscnt 0x0
	v_lshrrev_b32_e32 v58, 16, v48
	v_lshrrev_b32_e32 v53, 16, v42
	v_add_nc_u32_e32 v30, v32, v36
	v_lshrrev_b32_e32 v57, 16, v46
	v_lshrrev_b32_e32 v51, 16, v40
	;; [unrolled: 1-line block ×3, first 2 shown]
	s_delay_alu instid0(VALU_DEP_4) | instskip(NEXT) | instid1(VALU_DEP_1)
	v_add_nc_u32_e32 v33, v30, v36
	v_add_nc_u32_e32 v35, v33, v36
	s_delay_alu instid0(VALU_DEP_1) | instskip(NEXT) | instid1(VALU_DEP_1)
	v_add_nc_u32_e32 v31, v35, v36
	v_add_nc_u32_e32 v34, v31, v36
	s_delay_alu instid0(VALU_DEP_1) | instskip(NEXT) | instid1(VALU_DEP_1)
	v_add_nc_u32_e32 v36, v34, v36
	v_lshrrev_b32_e32 v47, 8, v36
	s_delay_alu instid0(VALU_DEP_1) | instskip(SKIP_1) | instid1(VALU_DEP_1)
	v_and_b32_e32 v47, 0x7c, v47
	s_wait_alu 0xfffe
	v_add_nc_u32_e32 v25, s6, v47
	ds_load_u16 v47, v8 offset:222
	ds_load_b32 v25, v25 offset:256
	s_wait_loadcnt 0x2
	v_lshrrev_b32_e32 v59, 16, v0
	v_lshrrev_b32_e32 v60, 16, v1
	s_wait_loadcnt 0x1
	v_lshrrev_b32_e32 v64, 16, v5
	s_wait_loadcnt 0x0
	v_lshrrev_b32_e32 v67, 16, v9
	v_lshrrev_b32_e32 v61, 16, v2
	v_mul_f16_e32 v69, v59, v54
	v_mul_f16_e32 v59, v59, v43
	v_mul_f16_e32 v70, v60, v55
	v_mul_f16_e32 v60, v60, v44
	v_mul_f16_e32 v74, v49, v64
	v_mul_f16_e32 v77, v52, v67
	v_mul_f16_e32 v67, v41, v67
	v_fmac_f16_e32 v69, v0, v43
	v_fma_f16 v0, v0, v54, -v59
	v_lshrrev_b32_e32 v62, 16, v3
	v_lshrrev_b32_e32 v68, 16, v10
	v_mul_f16_e32 v71, v61, v56
	v_mul_f16_e32 v61, v61, v45
	;; [unrolled: 1-line block ×3, first 2 shown]
	v_fmac_f16_e32 v70, v1, v44
	v_fma_f16 v1, v1, v55, -v60
	v_fmac_f16_e32 v74, v38, v5
	v_fmac_f16_e32 v77, v41, v9
	v_fma_f16 v9, v52, v9, -v67
	v_add_f16_e32 v38, v0, v58
	v_lshrrev_b32_e32 v63, 16, v4
	v_lshrrev_b32_e32 v66, 16, v7
	v_mul_f16_e32 v72, v62, v57
	v_mul_f16_e32 v62, v62, v46
	;; [unrolled: 1-line block ×4, first 2 shown]
	v_fmac_f16_e32 v71, v2, v45
	v_fma_f16 v2, v2, v56, -v61
	v_add_f16_e32 v43, v1, v9
	v_sub_f16_e32 v45, v1, v9
	v_add_f16_e32 v1, v38, v1
	v_lshrrev_b32_e32 v65, 16, v6
	s_wait_dscnt 0x1
	v_mul_f16_e32 v73, v47, v63
	v_mul_f16_e32 v63, v63, v37
	;; [unrolled: 1-line block ×3, first 2 shown]
	v_fmac_f16_e32 v72, v3, v46
	v_fma_f16 v3, v3, v57, -v62
	v_fmac_f16_e32 v78, v42, v10
	v_fma_f16 v10, v53, v10, -v68
	v_add_f16_e32 v1, v1, v2
	v_mul_f16_e32 v75, v50, v65
	v_mul_f16_e32 v66, v40, v66
	v_fmac_f16_e32 v73, v4, v37
	v_fma_f16 v4, v47, v4, -v63
	v_fmac_f16_e32 v76, v40, v7
	v_add_f16_e32 v40, v0, v10
	v_sub_f16_e32 v0, v0, v10
	v_add_f16_e32 v1, v1, v3
	v_mul_f16_e32 v65, v39, v65
	v_fma_f16 v5, v49, v5, -v64
	v_fmac_f16_e32 v75, v39, v6
	v_add_f16_e32 v39, v69, v78
	v_sub_f16_e32 v41, v69, v78
	v_mul_f16_e32 v47, 0xbb47, v0
	v_mul_f16_e32 v49, 0x36a6, v40
	v_add_f16_e32 v1, v1, v4
	v_fma_f16 v6, v50, v6, -v65
	v_add_f16_e32 v42, v70, v77
	v_sub_f16_e32 v44, v70, v77
	v_mul_f16_e32 v46, 0x3abb, v40
	v_mul_f16_e32 v50, 0xbbeb, v0
	v_mul_f16_e32 v56, 0xba0c, v45
	v_mul_f16_e32 v57, 0xb93d, v43
	v_fmamk_f16 v63, v39, 0x36a6, v47
	v_fmamk_f16 v64, v41, 0x3b47, v49
	v_fma_f16 v47, v39, 0x36a6, -v47
	v_fmac_f16_e32 v49, 0xbb47, v41
	v_add_f16_e32 v1, v1, v5
	v_fma_f16 v7, v51, v7, -v66
	v_add_f16_e32 v37, v69, v48
	v_mul_f16_e32 v51, 0xb08e, v40
	v_mul_f16_e32 v53, 0xb93d, v40
	;; [unrolled: 1-line block ×5, first 2 shown]
	v_fmamk_f16 v62, v41, 0x3853, v46
	v_fmac_f16_e32 v46, 0xb853, v41
	v_fmamk_f16 v65, v39, 0xb08e, v50
	v_fma_f16 v50, v39, 0xb08e, -v50
	v_fmamk_f16 v79, v42, 0xb93d, v56
	v_fmamk_f16 v80, v44, 0x3a0c, v57
	v_fma_f16 v56, v42, 0xb93d, -v56
	v_fmac_f16_e32 v57, 0xba0c, v44
	v_add_f16_e32 v47, v47, v48
	v_add_f16_e32 v49, v49, v58
	;; [unrolled: 1-line block ×4, first 2 shown]
	v_mul_f16_e32 v38, 0xb853, v0
	v_mul_f16_e32 v52, 0xba0c, v0
	;; [unrolled: 1-line block ×3, first 2 shown]
	v_fmamk_f16 v66, v41, 0x3beb, v51
	v_fmac_f16_e32 v51, 0xbbeb, v41
	v_fmamk_f16 v68, v41, 0x3a0c, v53
	v_fmac_f16_e32 v53, 0xba0c, v41
	;; [unrolled: 2-line block ×4, first 2 shown]
	v_add_f16_e32 v46, v46, v58
	v_add_f16_e32 v50, v50, v48
	;; [unrolled: 1-line block ×5, first 2 shown]
	v_fma_f16 v56, v42, 0xbbad, -v59
	v_mul_f16_e32 v57, 0xb08e, v43
	v_mul_f16_e32 v54, 0xbb47, v45
	;; [unrolled: 1-line block ×3, first 2 shown]
	v_fmamk_f16 v67, v39, 0xb93d, v52
	v_fma_f16 v52, v39, 0xb93d, -v52
	v_fmamk_f16 v69, v39, 0xbbad, v0
	v_add_f16_e32 v53, v53, v58
	v_add_f16_e32 v46, v55, v46
	;; [unrolled: 1-line block ×3, first 2 shown]
	v_mul_f16_e32 v55, 0x3beb, v45
	v_add_f16_e32 v50, v56, v50
	v_mul_f16_e32 v45, 0x3853, v45
	v_fmamk_f16 v56, v44, 0xbbeb, v57
	v_fmac_f16_e32 v57, 0x3beb, v44
	v_fmamk_f16 v61, v39, 0x3abb, v38
	v_fma_f16 v38, v39, 0x3abb, -v38
	v_fma_f16 v0, v39, 0xbbad, -v0
	v_fmamk_f16 v81, v42, 0xbbad, v59
	v_add_f16_e32 v62, v62, v58
	v_add_f16_e32 v64, v64, v58
	v_add_f16_e32 v66, v66, v58
	v_add_f16_e32 v51, v51, v58
	v_add_f16_e32 v68, v68, v58
	v_add_f16_e32 v52, v52, v48
	v_add_f16_e32 v69, v69, v48
	v_add_f16_e32 v70, v70, v58
	v_add_f16_e32 v40, v40, v58
	v_add_f16_e32 v1, v1, v10
	v_fmamk_f16 v10, v44, 0xb482, v60
	v_fmac_f16_e32 v60, 0x3482, v44
	v_fmamk_f16 v58, v42, 0xb08e, v55
	v_fma_f16 v55, v42, 0xb08e, -v55
	v_fmamk_f16 v59, v42, 0x3abb, v45
	v_mul_f16_e32 v43, 0x3abb, v43
	v_add_f16_e32 v53, v57, v53
	v_sub_f16_e32 v57, v2, v7
	v_add_f16_e32 v2, v2, v7
	v_fmamk_f16 v39, v42, 0x36a6, v54
	v_fma_f16 v54, v42, 0x36a6, -v54
	v_add_f16_e32 v61, v61, v48
	v_add_f16_e32 v38, v38, v48
	;; [unrolled: 1-line block ×6, first 2 shown]
	v_fmamk_f16 v59, v44, 0xb853, v43
	v_fma_f16 v42, v42, 0x3abb, -v45
	v_add_f16_e32 v7, v71, v76
	v_mul_f16_e32 v45, 0xbbeb, v57
	v_fmac_f16_e32 v43, 0x3853, v44
	v_sub_f16_e32 v44, v71, v76
	v_mul_f16_e32 v60, 0xb08e, v2
	v_add_f16_e32 v63, v63, v48
	v_add_f16_e32 v39, v39, v61
	;; [unrolled: 1-line block ×4, first 2 shown]
	v_fmamk_f16 v61, v7, 0xb08e, v45
	v_add_f16_e32 v0, v42, v0
	v_add_f16_e32 v40, v43, v40
	v_fmamk_f16 v42, v44, 0x3beb, v60
	v_mul_f16_e32 v43, 0x3482, v57
	v_fma_f16 v45, v7, 0xb08e, -v45
	v_fmac_f16_e32 v60, 0xbbeb, v44
	v_add_f16_e32 v65, v65, v48
	v_add_f16_e32 v67, v67, v48
	;; [unrolled: 1-line block ×5, first 2 shown]
	v_fmamk_f16 v42, v7, 0xbbad, v43
	v_mul_f16_e32 v61, 0xbbad, v2
	v_add_f16_e32 v38, v45, v38
	v_add_f16_e32 v45, v60, v46
	v_mul_f16_e32 v46, 0x3b47, v57
	v_add_f16_e32 v9, v80, v64
	v_add_f16_e32 v54, v81, v65
	;; [unrolled: 1-line block ×3, first 2 shown]
	v_fmamk_f16 v48, v44, 0xb482, v61
	v_fma_f16 v43, v7, 0xbbad, -v43
	v_fmac_f16_e32 v61, 0x3482, v44
	v_fmamk_f16 v60, v7, 0x36a6, v46
	v_mul_f16_e32 v62, 0x36a6, v2
	v_add_f16_e32 v10, v10, v66
	v_add_f16_e32 v9, v48, v9
	;; [unrolled: 1-line block ×5, first 2 shown]
	v_fmamk_f16 v49, v44, 0xbb47, v62
	v_mul_f16_e32 v54, 0xb853, v57
	v_fma_f16 v46, v7, 0x36a6, -v46
	v_fmac_f16_e32 v62, 0x3b47, v44
	v_mul_f16_e32 v60, 0x3abb, v2
	v_add_f16_e32 v56, v56, v68
	v_add_f16_e32 v10, v49, v10
	v_fmamk_f16 v49, v7, 0x3abb, v54
	v_add_f16_e32 v46, v46, v50
	v_add_f16_e32 v50, v62, v51
	v_fmamk_f16 v51, v44, 0x3853, v60
	v_mul_f16_e32 v57, 0xba0c, v57
	v_fma_f16 v54, v7, 0x3abb, -v54
	v_mul_f16_e32 v2, 0xb93d, v2
	v_add_f16_e32 v58, v58, v67
	v_add_f16_e32 v51, v51, v56
	v_fmamk_f16 v56, v7, 0xb93d, v57
	v_add_f16_e32 v52, v54, v52
	v_sub_f16_e32 v54, v3, v6
	v_add_f16_e32 v3, v3, v6
	v_fmac_f16_e32 v60, 0xb853, v44
	v_add_f16_e32 v55, v56, v55
	v_fmamk_f16 v56, v44, 0x3a0c, v2
	v_fma_f16 v7, v7, 0xb93d, -v57
	v_fmac_f16_e32 v2, 0xba0c, v44
	v_sub_f16_e32 v44, v72, v75
	v_mul_f16_e32 v57, 0xb93d, v3
	v_add_f16_e32 v49, v49, v58
	v_add_f16_e32 v58, v72, v75
	v_mul_f16_e32 v6, 0xba0c, v54
	v_add_f16_e32 v0, v7, v0
	v_fmamk_f16 v7, v44, 0x3a0c, v57
	v_add_f16_e32 v59, v59, v70
	v_add_f16_e32 v53, v60, v53
	v_fmamk_f16 v60, v58, 0xb93d, v6
	v_add_f16_e32 v2, v2, v40
	v_mul_f16_e32 v40, 0x3beb, v54
	v_fma_f16 v6, v58, 0xb93d, -v6
	v_fmac_f16_e32 v57, 0xba0c, v44
	v_add_f16_e32 v7, v7, v41
	v_mul_f16_e32 v41, 0xb08e, v3
	v_add_f16_e32 v56, v56, v59
	v_fmamk_f16 v59, v58, 0xb08e, v40
	v_add_f16_e32 v6, v6, v38
	v_add_f16_e32 v38, v57, v45
	v_mul_f16_e32 v45, 0xb853, v54
	v_fmamk_f16 v57, v44, 0xbbeb, v41
	v_add_f16_e32 v42, v59, v42
	v_fma_f16 v40, v58, 0xb08e, -v40
	v_fmac_f16_e32 v41, 0x3beb, v44
	v_fmamk_f16 v59, v58, 0x3abb, v45
	v_add_f16_e32 v9, v57, v9
	v_mul_f16_e32 v57, 0x3abb, v3
	v_add_f16_e32 v40, v40, v43
	v_add_f16_e32 v41, v41, v47
	;; [unrolled: 1-line block ×3, first 2 shown]
	v_mul_f16_e32 v47, 0xb482, v54
	v_fmamk_f16 v48, v44, 0x3853, v57
	v_fma_f16 v45, v58, 0x3abb, -v45
	v_fmac_f16_e32 v57, 0xb853, v44
	v_mul_f16_e32 v59, 0xbbad, v3
	v_add_f16_e32 v39, v60, v39
	v_fmamk_f16 v60, v58, 0xbbad, v47
	v_add_f16_e32 v10, v48, v10
	v_add_f16_e32 v45, v45, v46
	;; [unrolled: 1-line block ×3, first 2 shown]
	v_fmamk_f16 v48, v44, 0x3482, v59
	v_mul_f16_e32 v50, 0x3b47, v54
	v_mul_f16_e32 v3, 0x36a6, v3
	v_fma_f16 v47, v58, 0xbbad, -v47
	v_fmac_f16_e32 v59, 0xb482, v44
	v_add_f16_e32 v48, v48, v51
	v_fmamk_f16 v51, v58, 0x36a6, v50
	v_fmamk_f16 v54, v44, 0xbb47, v3
	v_add_f16_e32 v47, v47, v52
	v_sub_f16_e32 v52, v4, v5
	v_add_f16_e32 v4, v4, v5
	v_add_f16_e32 v51, v51, v55
	;; [unrolled: 1-line block ×4, first 2 shown]
	v_mul_f16_e32 v56, 0xb482, v52
	v_fmac_f16_e32 v3, 0x3b47, v44
	v_fma_f16 v5, v58, 0x36a6, -v50
	v_sub_f16_e32 v44, v73, v74
	v_mul_f16_e32 v57, 0xbbad, v4
	v_fmamk_f16 v50, v55, 0xbbad, v56
	v_add_f16_e32 v2, v3, v2
	v_mul_f16_e32 v3, 0x3853, v52
	v_add_f16_e32 v0, v5, v0
	v_mul_f16_e32 v58, 0x3abb, v4
	v_add_f16_e32 v5, v50, v39
	v_fmamk_f16 v39, v44, 0x3482, v57
	v_fma_f16 v50, v55, 0xbbad, -v56
	v_fmamk_f16 v56, v55, 0x3abb, v3
	v_fma_f16 v3, v55, 0x3abb, -v3
	v_fmac_f16_e32 v57, 0xb482, v44
	v_add_f16_e32 v7, v39, v7
	v_add_f16_e32 v6, v50, v6
	;; [unrolled: 1-line block ×3, first 2 shown]
	v_fmamk_f16 v42, v44, 0xb853, v58
	v_mul_f16_e32 v50, 0xba0c, v52
	v_fmac_f16_e32 v58, 0x3853, v44
	v_mul_f16_e32 v56, 0xb93d, v4
	v_add_f16_e32 v3, v3, v40
	v_add_f16_e32 v9, v42, v9
	v_fmamk_f16 v42, v55, 0xb93d, v50
	v_add_f16_e32 v40, v58, v41
	v_fmamk_f16 v41, v44, 0x3a0c, v56
	v_fma_f16 v50, v55, 0xb93d, -v50
	v_add_f16_e32 v38, v57, v38
	v_and_b32_e32 v57, 31, v27
	v_lshrrev_b32_e32 v58, 3, v29
	v_add_f16_e32 v10, v41, v10
	v_add_f16_e32 v41, v50, v45
	v_lshrrev_b32_e32 v45, 3, v27
	v_lshrrev_b32_e32 v27, 8, v27
	v_add_f16_e32 v53, v59, v53
	v_lshrrev_b32_e32 v59, 8, v29
	v_add_f16_e32 v49, v60, v49
	v_lshrrev_b32_e32 v60, 3, v26
	v_and_b32_e32 v27, 0x7c, v27
	v_and_b32_e32 v29, 31, v29
	;; [unrolled: 1-line block ×4, first 2 shown]
	v_add_f16_e32 v42, v42, v43
	v_fmac_f16_e32 v56, 0xba0c, v44
	v_mul_f16_e32 v43, 0x3b47, v52
	v_and_b32_e32 v59, 0x7c, v59
	v_and_b32_e32 v61, 31, v26
	;; [unrolled: 1-line block ×3, first 2 shown]
	v_lshl_add_u32 v57, v57, 2, 0
	v_add_nc_u32_e32 v27, s6, v27
	v_lshl_add_u32 v29, v29, 2, 0
	v_add_nc_u32_e32 v45, s6, v45
	v_add_nc_u32_e32 v58, s6, v58
	v_add_f16_e32 v46, v56, v46
	v_fmamk_f16 v50, v55, 0x36a6, v43
	v_mul_f16_e32 v56, 0x36a6, v4
	v_add_nc_u32_e32 v59, s6, v59
	v_lshl_add_u32 v61, v61, 2, 0
	v_add_nc_u32_e32 v60, s6, v60
	ds_load_b32 v57, v57 offset:5324
	ds_load_b32 v45, v45 offset:128
	;; [unrolled: 1-line block ×8, first 2 shown]
	v_add_f16_e32 v49, v50, v49
	v_fmamk_f16 v50, v44, 0xbb47, v56
	v_fma_f16 v43, v55, 0x36a6, -v43
	v_mul_f16_e32 v4, 0xb08e, v4
	v_fmac_f16_e32 v56, 0x3b47, v44
	v_add_f16_e32 v37, v37, v71
	v_add_f16_e32 v48, v50, v48
	v_mul_f16_e32 v50, 0xbbeb, v52
	v_add_f16_e32 v43, v43, v47
	v_fmamk_f16 v64, v44, 0x3beb, v4
	v_add_f16_e32 v53, v56, v53
	v_add_f16_e32 v37, v37, v72
	v_fmamk_f16 v47, v55, 0xb08e, v50
	v_fmac_f16_e32 v4, 0xbbeb, v44
	v_lshrrev_b32_e32 v26, 8, v26
	v_fma_f16 v50, v55, 0xb08e, -v50
	s_wait_dscnt 0x3
	v_lshrrev_b32_e32 v56, 16, v58
	v_add_f16_e32 v47, v47, v51
	v_add_f16_e32 v51, v64, v54
	v_lshrrev_b32_e32 v54, 16, v29
	v_add_f16_e32 v37, v37, v73
	v_lshrrev_b32_e32 v62, 16, v57
	v_lshrrev_b32_e32 v63, 16, v45
	v_add_f16_e32 v2, v4, v2
	v_mul_f16_e32 v44, v54, v56
	v_add_f16_e32 v37, v37, v74
	v_and_b32_e32 v26, 0x7c, v26
	v_mul_f16_e32 v52, v62, v63
	v_add_f16_e32 v0, v50, v0
	v_fma_f16 v4, v29, v58, -v44
	v_mul_f16_e32 v29, v29, v56
	s_wait_dscnt 0x2
	v_lshrrev_b32_e32 v44, 16, v59
	v_add_f16_e32 v37, v37, v75
	v_fma_f16 v52, v57, v45, -v52
	v_mul_f16_e32 v57, v57, v63
	v_fmac_f16_e32 v29, v54, v58
	v_mul_f16_e32 v54, v4, v44
	v_lshrrev_b32_e32 v63, 16, v27
	v_add_f16_e32 v37, v37, v76
	v_fmac_f16_e32 v57, v62, v45
	v_mul_f16_e32 v44, v29, v44
	v_fmac_f16_e32 v54, v59, v29
	v_lshrrev_b32_e32 v29, 3, v28
	v_mul_f16_e32 v45, v52, v63
	v_and_b32_e32 v56, 31, v28
	v_add_nc_u32_e32 v26, s6, v26
	v_add_f16_e32 v37, v37, v77
	v_and_b32_e32 v29, 0x7c, v29
	v_mul_f16_e32 v55, v57, v63
	v_fmac_f16_e32 v45, v27, v57
	v_lshl_add_u32 v56, v56, 2, 0
	ds_load_b32 v26, v26 offset:256
	v_add_nc_u32_e32 v29, s6, v29
	v_add_f16_e32 v37, v37, v78
	v_fma_f16 v27, v27, v52, -v55
	v_mul_f16_e32 v50, v1, v45
	s_wait_dscnt 0x2
	v_lshrrev_b32_e32 v52, 16, v61
	s_wait_dscnt 0x1
	v_lshrrev_b32_e32 v55, 16, v60
	v_lshrrev_b32_e32 v28, 8, v28
	ds_load_b32 v56, v56 offset:5324
	ds_load_b32 v29, v29 offset:128
	v_lshrrev_b32_e32 v57, 3, v32
	v_lshrrev_b32_e32 v58, 8, v32
	v_fmac_f16_e32 v50, v37, v27
	v_mul_f16_e32 v37, v37, v45
	v_mul_f16_e32 v45, v52, v55
	v_and_b32_e32 v28, 0x7c, v28
	v_and_b32_e32 v32, 31, v32
	;; [unrolled: 1-line block ×4, first 2 shown]
	v_fma_f16 v45, v61, v60, -v45
	v_mul_f16_e32 v55, v61, v55
	v_and_b32_e32 v61, 31, v30
	v_add_nc_u32_e32 v28, s6, v28
	v_lshl_add_u32 v32, v32, 2, 0
	v_add_nc_u32_e32 v57, s6, v57
	v_add_nc_u32_e32 v58, s6, v58
	v_lshl_add_u32 v61, v61, 2, 0
	ds_load_b32 v28, v28 offset:256
	ds_load_b32 v32, v32 offset:5324
	;; [unrolled: 1-line block ×5, first 2 shown]
	s_wait_dscnt 0x7
	v_lshrrev_b32_e32 v62, 16, v26
	v_fma_f16 v1, v1, v27, -v37
	v_fma_f16 v4, v59, v4, -v44
	v_mul_f16_e32 v27, v7, v54
	v_fmac_f16_e32 v55, v52, v60
	v_mul_f16_e32 v37, v45, v62
	s_wait_dscnt 0x6
	v_lshrrev_b32_e32 v44, 16, v56
	s_wait_dscnt 0x5
	v_lshrrev_b32_e32 v52, 16, v29
	v_fmac_f16_e32 v27, v5, v4
	v_mul_f16_e32 v5, v5, v54
	v_mul_f16_e32 v54, v55, v62
	v_fmac_f16_e32 v37, v26, v55
	v_mul_f16_e32 v55, v44, v52
	v_mul_f16_e32 v52, v56, v52
	v_fma_f16 v4, v7, v4, -v5
	v_fma_f16 v5, v26, v45, -v54
	v_mul_f16_e32 v7, v9, v37
	v_fma_f16 v26, v56, v29, -v55
	v_fmac_f16_e32 v52, v44, v29
	s_wait_dscnt 0x4
	v_lshrrev_b32_e32 v29, 16, v28
	v_mul_f16_e32 v37, v39, v37
	v_fmac_f16_e32 v7, v39, v5
	v_lshrrev_b32_e32 v55, 3, v30
	s_wait_dscnt 0x3
	v_lshrrev_b32_e32 v44, 16, v32
	v_mul_f16_e32 v39, v52, v29
	s_wait_dscnt 0x2
	v_lshrrev_b32_e32 v45, 16, v57
	v_mul_f16_e32 v29, v26, v29
	v_lshrrev_b32_e32 v30, 8, v30
	v_lshrrev_b32_e32 v56, 8, v35
	v_fma_f16 v26, v28, v26, -v39
	v_and_b32_e32 v39, 0x7c, v55
	v_mul_f16_e32 v54, v44, v45
	v_fmac_f16_e32 v29, v28, v52
	v_and_b32_e32 v30, 0x7c, v30
	v_and_b32_e32 v52, 31, v33
	v_add_nc_u32_e32 v39, s6, v39
	v_fma_f16 v28, v32, v57, -v54
	v_lshrrev_b32_e32 v54, 3, v33
	v_add_nc_u32_e32 v30, s6, v30
	v_lshl_add_u32 v52, v52, 2, 0
	ds_load_b32 v39, v39 offset:128
	v_lshrrev_b32_e32 v33, 8, v33
	v_and_b32_e32 v54, 0x7c, v54
	v_lshrrev_b32_e32 v55, 3, v35
	v_and_b32_e32 v35, 31, v35
	v_mul_f16_e32 v32, v32, v45
	v_and_b32_e32 v33, 0x7c, v33
	v_add_nc_u32_e32 v54, s6, v54
	ds_load_b32 v30, v30 offset:256
	ds_load_b32 v52, v52 offset:5324
	;; [unrolled: 1-line block ×3, first 2 shown]
	s_wait_dscnt 0x5
	v_lshrrev_b32_e32 v45, 16, v58
	v_and_b32_e32 v55, 0x7c, v55
	s_wait_dscnt 0x4
	v_lshrrev_b32_e32 v59, 16, v61
	v_and_b32_e32 v56, 0x7c, v56
	v_add_nc_u32_e32 v33, s6, v33
	v_lshl_add_u32 v35, v35, 2, 0
	v_add_nc_u32_e32 v55, s6, v55
	v_mul_f16_e32 v62, v10, v29
	v_fma_f16 v5, v9, v5, -v37
	s_wait_dscnt 0x3
	v_lshrrev_b32_e32 v60, 16, v39
	v_fmac_f16_e32 v32, v44, v57
	v_mul_f16_e32 v9, v28, v45
	v_add_nc_u32_e32 v56, s6, v56
	ds_load_b32 v33, v33 offset:256
	ds_load_b32 v35, v35 offset:5324
	;; [unrolled: 1-line block ×4, first 2 shown]
	v_mul_f16_e32 v37, v59, v60
	v_fmac_f16_e32 v62, v42, v26
	v_mul_f16_e32 v29, v42, v29
	v_mul_f16_e32 v42, v32, v45
	v_fmac_f16_e32 v9, v58, v32
	v_fma_f16 v32, v61, v39, -v37
	v_mul_f16_e32 v37, v61, v60
	s_wait_dscnt 0x6
	v_lshrrev_b32_e32 v44, 16, v30
	s_wait_dscnt 0x5
	v_lshrrev_b32_e32 v45, 16, v52
	;; [unrolled: 2-line block ×3, first 2 shown]
	v_fma_f16 v28, v58, v28, -v42
	v_fmac_f16_e32 v37, v59, v39
	v_mul_f16_e32 v39, v32, v44
	v_fma_f16 v10, v10, v26, -v29
	v_mul_f16_e32 v58, v45, v57
	v_mul_f16_e32 v42, v48, v9
	;; [unrolled: 1-line block ×3, first 2 shown]
	v_fmac_f16_e32 v39, v30, v37
	v_mul_f16_e32 v37, v52, v57
	v_fma_f16 v29, v52, v54, -v58
	s_wait_dscnt 0x3
	v_lshrrev_b32_e32 v44, 16, v33
	v_mul_f16_e32 v9, v49, v9
	v_fmac_f16_e32 v42, v49, v28
	v_fmac_f16_e32 v37, v45, v54
	v_fma_f16 v26, v30, v32, -v26
	v_mul_f16_e32 v32, v29, v44
	v_fma_f16 v9, v48, v28, -v9
	v_mul_f16_e32 v30, v51, v39
	v_mul_f16_e32 v28, v37, v44
	;; [unrolled: 1-line block ×3, first 2 shown]
	v_fmac_f16_e32 v32, v33, v37
	s_wait_dscnt 0x2
	v_lshrrev_b32_e32 v45, 16, v35
	v_fmac_f16_e32 v30, v47, v26
	v_fma_f16 v28, v33, v29, -v28
	v_lshrrev_b32_e32 v33, 3, v31
	v_and_b32_e32 v47, 31, v31
	s_wait_dscnt 0x1
	v_lshrrev_b32_e32 v49, 16, v55
	v_lshrrev_b32_e32 v31, 8, v31
	;; [unrolled: 1-line block ×3, first 2 shown]
	v_and_b32_e32 v33, 0x7c, v33
	v_lshl_add_u32 v47, v47, 2, 0
	v_mul_f16_e32 v37, v45, v49
	v_and_b32_e32 v31, 0x7c, v31
	v_lshrrev_b32_e32 v52, 3, v36
	v_add_nc_u32_e32 v33, s6, v33
	ds_load_b32 v47, v47 offset:5324
	ds_load_b32 v33, v33 offset:128
	v_fma_f16 v37, v35, v55, -v37
	v_mul_f16_e32 v35, v35, v49
	v_lshrrev_b32_e32 v49, 8, v34
	v_add_nc_u32_e32 v31, s6, v31
	v_and_b32_e32 v34, 31, v34
	v_and_b32_e32 v48, 0x7c, v48
	;; [unrolled: 1-line block ×5, first 2 shown]
	ds_load_b32 v31, v31 offset:256
	v_lshl_add_u32 v34, v34, 2, 0
	v_add_nc_u32_e32 v48, s6, v48
	v_add_nc_u32_e32 v49, s6, v49
	v_lshl_add_u32 v36, v36, 2, 0
	s_wait_dscnt 0x3
	v_lshrrev_b32_e32 v44, 16, v56
	v_add_nc_u32_e32 v52, s6, v52
	ds_load_b32 v34, v34 offset:5324
	ds_load_b32 v48, v48 offset:128
	;; [unrolled: 1-line block ×5, first 2 shown]
	v_fmac_f16_e32 v35, v45, v55
	s_wait_dscnt 0x7
	v_lshrrev_b32_e32 v54, 16, v47
	v_mul_f16_e32 v45, v37, v44
	s_wait_dscnt 0x6
	v_lshrrev_b32_e32 v55, 16, v33
	v_mul_f16_e32 v29, v2, v32
	v_fma_f16 v26, v51, v26, -v39
	v_mul_f16_e32 v39, v35, v44
	v_fmac_f16_e32 v45, v56, v35
	v_mul_f16_e32 v35, v54, v55
	v_fmac_f16_e32 v29, v0, v28
	v_mul_f16_e32 v0, v0, v32
	v_fma_f16 v32, v56, v37, -v39
	v_mul_f16_e32 v37, v53, v45
	v_mul_f16_e32 v39, v47, v55
	v_fma_f16 v35, v47, v33, -v35
	s_wait_dscnt 0x5
	v_lshrrev_b32_e32 v44, 16, v31
	v_fma_f16 v0, v2, v28, -v0
	v_fmac_f16_e32 v37, v43, v32
	v_fmac_f16_e32 v39, v54, v33
	v_mul_f16_e32 v2, v43, v45
	v_mul_f16_e32 v28, v35, v44
	s_wait_dscnt 0x4
	v_lshrrev_b32_e32 v33, 16, v34
	s_wait_dscnt 0x3
	v_lshrrev_b32_e32 v43, 16, v48
	;; [unrolled: 2-line block ×4, first 2 shown]
	v_mul_f16_e32 v44, v39, v44
	v_fmac_f16_e32 v28, v31, v39
	v_mul_f16_e32 v39, v33, v43
	v_fma_f16 v2, v53, v32, -v2
	v_mul_f16_e32 v32, v45, v47
	v_fma_f16 v31, v31, v35, -v44
	v_lshrrev_b32_e32 v44, 16, v25
	v_fma_f16 v39, v34, v48, -v39
	v_mul_f16_e32 v34, v34, v43
	v_lshrrev_b32_e32 v43, 16, v49
	v_fma_f16 v32, v36, v52, -v32
	v_mul_f16_e32 v36, v36, v47
	v_mul_f16_e32 v35, v46, v28
	v_fmac_f16_e32 v34, v33, v48
	v_mul_f16_e32 v33, v39, v43
	v_mul_f16_e32 v28, v41, v28
	v_fmac_f16_e32 v36, v45, v52
	;; [unrolled: 3-line block ×3, first 2 shown]
	v_pack_b32_f16 v1, v50, v1
	v_mul_f16_e32 v34, v36, v44
	v_fmac_f16_e32 v45, v25, v36
	v_fma_f16 v36, v49, v39, -v43
	v_mul_f16_e32 v39, v40, v33
	v_mul_f16_e32 v33, v3, v33
	v_fma_f16 v25, v25, v32, -v34
	v_mul_f16_e32 v32, v38, v45
	v_mul_f16_e32 v34, v6, v45
	v_pack_b32_f16 v4, v27, v4
	v_fmac_f16_e32 v35, v41, v31
	v_fma_f16 v28, v46, v31, -v28
	v_fmac_f16_e32 v39, v3, v36
	v_fma_f16 v3, v40, v36, -v33
	;; [unrolled: 2-line block ×3, first 2 shown]
	global_wb scope:SCOPE_SE
	s_barrier_signal -1
	s_barrier_wait -1
	global_inv scope:SCOPE_SE
	ds_store_2addr_b32 v8, v1, v4 offset1:11
	v_pack_b32_f16 v1, v7, v5
	v_pack_b32_f16 v4, v62, v10
	;; [unrolled: 1-line block ×9, first 2 shown]
	ds_store_2addr_b32 v8, v1, v4 offset0:22 offset1:33
	ds_store_2addr_b32 v8, v5, v7 offset0:44 offset1:55
	;; [unrolled: 1-line block ×4, first 2 shown]
	ds_store_b32 v8, v6 offset:440
	global_wb scope:SCOPE_SE
	s_wait_dscnt 0x0
	s_barrier_signal -1
	s_barrier_wait -1
	global_inv scope:SCOPE_SE
	s_and_saveexec_b32 s6, s26
	s_cbranch_execz .LBB0_18
; %bb.17:
	v_mad_co_u64_u32 v[0:1], null, s14, v22, 0
	v_mad_co_u64_u32 v[2:3], null, s12, v20, 0
	;; [unrolled: 1-line block ×3, first 2 shown]
	s_mul_u64 s[0:1], s[0:1], s[20:21]
	s_lshl_b64 s[4:5], s[4:5], 2
	s_wait_alu 0xfffe
	s_lshl_b64 s[0:1], s[0:1], 2
	v_add3_u32 v29, 0, v24, v23
	s_delay_alu instid0(VALU_DEP_3) | instskip(NEXT) | instid1(VALU_DEP_3)
	v_mad_co_u64_u32 v[6:7], null, s15, v22, v[1:2]
	v_mad_co_u64_u32 v[7:8], null, s13, v20, v[3:4]
	;; [unrolled: 1-line block ×3, first 2 shown]
	v_mov_b32_e32 v1, v5
	s_wait_alu 0xfffe
	s_add_nc_u64 s[0:1], s[2:3], s[0:1]
	v_mad_co_u64_u32 v[25:26], null, s12, v16, 0
	s_wait_alu 0xfffe
	s_add_nc_u64 s[0:1], s[0:1], s[4:5]
	v_mad_co_u64_u32 v[20:21], null, s13, v21, v[1:2]
	v_dual_mov_b32 v1, v6 :: v_dual_mov_b32 v6, v9
	v_mov_b32_e32 v3, v7
	ds_load_2addr_b32 v[23:24], v29 offset0:22 offset1:33
	v_mad_co_u64_u32 v[21:22], null, s12, v18, 0
	v_lshlrev_b64_e32 v[0:1], 2, v[0:1]
	v_lshlrev_b64_e32 v[2:3], 2, v[2:3]
	v_mov_b32_e32 v5, v20
	s_wait_alu 0xfffe
	s_delay_alu instid0(VALU_DEP_3)
	v_add_co_u32 v30, vcc_lo, s0, v0
	s_wait_alu 0xfffd
	v_add_co_ci_u32_e32 v31, vcc_lo, s1, v1, vcc_lo
	v_mad_co_u64_u32 v[0:1], null, s13, v19, v[6:7]
	v_mad_co_u64_u32 v[6:7], null, s12, v17, 0
	ds_load_2addr_b32 v[19:20], v29 offset1:11
	v_add_co_u32 v1, vcc_lo, v30, v2
	s_wait_alu 0xfffd
	v_add_co_ci_u32_e32 v2, vcc_lo, v31, v3, vcc_lo
	v_dual_mov_b32 v9, v0 :: v_dual_mov_b32 v0, v7
	s_delay_alu instid0(VALU_DEP_1) | instskip(NEXT) | instid1(VALU_DEP_2)
	v_lshlrev_b64_e32 v[7:8], 2, v[8:9]
	v_mad_co_u64_u32 v[9:10], null, s13, v17, v[0:1]
	v_mov_b32_e32 v0, v26
	v_lshlrev_b64_e32 v[3:4], 2, v[4:5]
	s_delay_alu instid0(VALU_DEP_1) | instskip(SKIP_1) | instid1(VALU_DEP_2)
	v_add_co_u32 v3, vcc_lo, v30, v3
	s_wait_alu 0xfffd
	v_add_co_ci_u32_e32 v4, vcc_lo, v31, v4, vcc_lo
	s_wait_dscnt 0x0
	s_clause 0x1
	global_store_b32 v[1:2], v19, off
	global_store_b32 v[3:4], v20, off
	ds_load_2addr_b32 v[1:2], v29 offset0:44 offset1:55
	v_add_co_u32 v27, vcc_lo, v30, v7
	v_mov_b32_e32 v7, v9
	s_wait_alu 0xfffd
	v_add_co_ci_u32_e32 v28, vcc_lo, v31, v8, vcc_lo
	s_delay_alu instid0(VALU_DEP_2)
	v_lshlrev_b64_e32 v[3:4], 2, v[6:7]
	global_store_b32 v[27:28], v23, off
	v_add_co_u32 v3, vcc_lo, v30, v3
	s_wait_alu 0xfffd
	v_add_co_ci_u32_e32 v4, vcc_lo, v31, v4, vcc_lo
	s_wait_dscnt 0x0
	v_mad_co_u64_u32 v[7:8], null, s13, v16, v[0:1]
	v_mad_co_u64_u32 v[8:9], null, s12, v15, 0
	s_delay_alu instid0(VALU_DEP_2) | instskip(NEXT) | instid1(VALU_DEP_2)
	v_dual_mov_b32 v5, v22 :: v_dual_mov_b32 v26, v7
	v_mov_b32_e32 v0, v9
	s_delay_alu instid0(VALU_DEP_2) | instskip(SKIP_1) | instid1(VALU_DEP_2)
	v_mad_co_u64_u32 v[17:18], null, s13, v18, v[5:6]
	v_mad_co_u64_u32 v[18:19], null, s12, v12, 0
	v_mov_b32_e32 v22, v17
	v_mad_co_u64_u32 v[16:17], null, s12, v14, 0
	s_delay_alu instid0(VALU_DEP_3) | instskip(NEXT) | instid1(VALU_DEP_3)
	v_mov_b32_e32 v7, v19
	v_lshlrev_b64_e32 v[5:6], 2, v[21:22]
	s_delay_alu instid0(VALU_DEP_1) | instskip(SKIP_1) | instid1(VALU_DEP_2)
	v_add_co_u32 v5, vcc_lo, v30, v5
	s_wait_alu 0xfffd
	v_add_co_ci_u32_e32 v6, vcc_lo, v31, v6, vcc_lo
	s_clause 0x1
	global_store_b32 v[3:4], v24, off
	global_store_b32 v[5:6], v1, off
	v_lshlrev_b64_e32 v[3:4], 2, v[25:26]
	v_mad_co_u64_u32 v[0:1], null, s13, v15, v[0:1]
	v_mad_co_u64_u32 v[5:6], null, s12, v13, 0
	s_delay_alu instid0(VALU_DEP_3) | instskip(SKIP_1) | instid1(VALU_DEP_4)
	v_add_co_u32 v3, vcc_lo, v30, v3
	s_wait_alu 0xfffd
	v_add_co_ci_u32_e32 v4, vcc_lo, v31, v4, vcc_lo
	s_delay_alu instid0(VALU_DEP_4) | instskip(SKIP_4) | instid1(VALU_DEP_3)
	v_mov_b32_e32 v9, v0
	global_store_b32 v[3:4], v2, off
	v_lshlrev_b64_e32 v[3:4], 2, v[8:9]
	v_mad_co_u64_u32 v[8:9], null, s12, v11, 0
	v_mov_b32_e32 v1, v17
	v_add_co_u32 v3, vcc_lo, v30, v3
	s_delay_alu instid0(VALU_DEP_2) | instskip(SKIP_3) | instid1(VALU_DEP_2)
	v_mad_co_u64_u32 v[14:15], null, s13, v14, v[1:2]
	v_mov_b32_e32 v1, v6
	s_wait_alu 0xfffd
	v_add_co_ci_u32_e32 v4, vcc_lo, v31, v4, vcc_lo
	v_mad_co_u64_u32 v[0:1], null, s13, v13, v[1:2]
	ds_load_2addr_b32 v[1:2], v29 offset0:66 offset1:77
	v_mov_b32_e32 v17, v14
	v_mad_co_u64_u32 v[12:13], null, s13, v12, v[7:8]
	ds_load_2addr_b32 v[13:14], v29 offset0:88 offset1:99
	v_mov_b32_e32 v6, v0
	v_mov_b32_e32 v0, v9
	v_lshlrev_b64_e32 v[9:10], 2, v[16:17]
	v_mov_b32_e32 v19, v12
	s_delay_alu instid0(VALU_DEP_4)
	v_lshlrev_b64_e32 v[5:6], 2, v[5:6]
	s_wait_dscnt 0x1
	v_mad_co_u64_u32 v[15:16], null, s13, v11, v[0:1]
	ds_load_b32 v0, v29 offset:440
	v_add_co_u32 v11, vcc_lo, v30, v9
	v_lshlrev_b64_e32 v[16:17], 2, v[18:19]
	s_wait_alu 0xfffd
	v_add_co_ci_u32_e32 v12, vcc_lo, v31, v10, vcc_lo
	v_mov_b32_e32 v9, v15
	v_add_co_u32 v5, vcc_lo, v30, v5
	s_wait_alu 0xfffd
	v_add_co_ci_u32_e32 v6, vcc_lo, v31, v6, vcc_lo
	s_delay_alu instid0(VALU_DEP_3) | instskip(SKIP_3) | instid1(VALU_DEP_3)
	v_lshlrev_b64_e32 v[7:8], 2, v[8:9]
	v_add_co_u32 v9, vcc_lo, v30, v16
	s_wait_alu 0xfffd
	v_add_co_ci_u32_e32 v10, vcc_lo, v31, v17, vcc_lo
	v_add_co_u32 v7, vcc_lo, v30, v7
	s_wait_alu 0xfffd
	v_add_co_ci_u32_e32 v8, vcc_lo, v31, v8, vcc_lo
	s_clause 0x1
	global_store_b32 v[3:4], v1, off
	global_store_b32 v[11:12], v2, off
	s_wait_dscnt 0x1
	s_clause 0x1
	global_store_b32 v[5:6], v13, off
	global_store_b32 v[9:10], v14, off
	s_wait_dscnt 0x0
	global_store_b32 v[7:8], v0, off
.LBB0_18:
	s_nop 0
	s_sendmsg sendmsg(MSG_DEALLOC_VGPRS)
	s_endpgm
	.section	.rodata,"a",@progbits
	.p2align	6, 0x0
	.amdhsa_kernel fft_rtc_back_len121_factors_11_11_wgs_121_tpt_11_half_op_CI_CI_sbcc_twdbase5_3step
		.amdhsa_group_segment_fixed_size 0
		.amdhsa_private_segment_fixed_size 0
		.amdhsa_kernarg_size 112
		.amdhsa_user_sgpr_count 2
		.amdhsa_user_sgpr_dispatch_ptr 0
		.amdhsa_user_sgpr_queue_ptr 0
		.amdhsa_user_sgpr_kernarg_segment_ptr 1
		.amdhsa_user_sgpr_dispatch_id 0
		.amdhsa_user_sgpr_private_segment_size 0
		.amdhsa_wavefront_size32 1
		.amdhsa_uses_dynamic_stack 0
		.amdhsa_enable_private_segment 0
		.amdhsa_system_sgpr_workgroup_id_x 1
		.amdhsa_system_sgpr_workgroup_id_y 0
		.amdhsa_system_sgpr_workgroup_id_z 0
		.amdhsa_system_sgpr_workgroup_info 0
		.amdhsa_system_vgpr_workitem_id 0
		.amdhsa_next_free_vgpr 82
		.amdhsa_next_free_sgpr 59
		.amdhsa_reserve_vcc 1
		.amdhsa_float_round_mode_32 0
		.amdhsa_float_round_mode_16_64 0
		.amdhsa_float_denorm_mode_32 3
		.amdhsa_float_denorm_mode_16_64 3
		.amdhsa_fp16_overflow 0
		.amdhsa_workgroup_processor_mode 1
		.amdhsa_memory_ordered 1
		.amdhsa_forward_progress 0
		.amdhsa_round_robin_scheduling 0
		.amdhsa_exception_fp_ieee_invalid_op 0
		.amdhsa_exception_fp_denorm_src 0
		.amdhsa_exception_fp_ieee_div_zero 0
		.amdhsa_exception_fp_ieee_overflow 0
		.amdhsa_exception_fp_ieee_underflow 0
		.amdhsa_exception_fp_ieee_inexact 0
		.amdhsa_exception_int_div_zero 0
	.end_amdhsa_kernel
	.text
.Lfunc_end0:
	.size	fft_rtc_back_len121_factors_11_11_wgs_121_tpt_11_half_op_CI_CI_sbcc_twdbase5_3step, .Lfunc_end0-fft_rtc_back_len121_factors_11_11_wgs_121_tpt_11_half_op_CI_CI_sbcc_twdbase5_3step
                                        ; -- End function
	.section	.AMDGPU.csdata,"",@progbits
; Kernel info:
; codeLenInByte = 10432
; NumSgprs: 61
; NumVgprs: 82
; ScratchSize: 0
; MemoryBound: 0
; FloatMode: 240
; IeeeMode: 1
; LDSByteSize: 0 bytes/workgroup (compile time only)
; SGPRBlocks: 7
; VGPRBlocks: 10
; NumSGPRsForWavesPerEU: 61
; NumVGPRsForWavesPerEU: 82
; Occupancy: 16
; WaveLimiterHint : 1
; COMPUTE_PGM_RSRC2:SCRATCH_EN: 0
; COMPUTE_PGM_RSRC2:USER_SGPR: 2
; COMPUTE_PGM_RSRC2:TRAP_HANDLER: 0
; COMPUTE_PGM_RSRC2:TGID_X_EN: 1
; COMPUTE_PGM_RSRC2:TGID_Y_EN: 0
; COMPUTE_PGM_RSRC2:TGID_Z_EN: 0
; COMPUTE_PGM_RSRC2:TIDIG_COMP_CNT: 0
	.text
	.p2alignl 7, 3214868480
	.fill 96, 4, 3214868480
	.type	__hip_cuid_c9fd15c0bf567946,@object ; @__hip_cuid_c9fd15c0bf567946
	.section	.bss,"aw",@nobits
	.globl	__hip_cuid_c9fd15c0bf567946
__hip_cuid_c9fd15c0bf567946:
	.byte	0                               ; 0x0
	.size	__hip_cuid_c9fd15c0bf567946, 1

	.ident	"AMD clang version 19.0.0git (https://github.com/RadeonOpenCompute/llvm-project roc-6.4.0 25133 c7fe45cf4b819c5991fe208aaa96edf142730f1d)"
	.section	".note.GNU-stack","",@progbits
	.addrsig
	.addrsig_sym __hip_cuid_c9fd15c0bf567946
	.amdgpu_metadata
---
amdhsa.kernels:
  - .args:
      - .actual_access:  read_only
        .address_space:  global
        .offset:         0
        .size:           8
        .value_kind:     global_buffer
      - .address_space:  global
        .offset:         8
        .size:           8
        .value_kind:     global_buffer
      - .offset:         16
        .size:           8
        .value_kind:     by_value
      - .actual_access:  read_only
        .address_space:  global
        .offset:         24
        .size:           8
        .value_kind:     global_buffer
      - .actual_access:  read_only
        .address_space:  global
        .offset:         32
        .size:           8
        .value_kind:     global_buffer
      - .actual_access:  read_only
        .address_space:  global
        .offset:         40
        .size:           8
        .value_kind:     global_buffer
      - .offset:         48
        .size:           8
        .value_kind:     by_value
      - .actual_access:  read_only
        .address_space:  global
        .offset:         56
        .size:           8
        .value_kind:     global_buffer
      - .actual_access:  read_only
        .address_space:  global
        .offset:         64
        .size:           8
        .value_kind:     global_buffer
      - .offset:         72
        .size:           4
        .value_kind:     by_value
      - .actual_access:  read_only
        .address_space:  global
        .offset:         80
        .size:           8
        .value_kind:     global_buffer
      - .actual_access:  read_only
        .address_space:  global
        .offset:         88
        .size:           8
        .value_kind:     global_buffer
      - .actual_access:  read_only
        .address_space:  global
        .offset:         96
        .size:           8
        .value_kind:     global_buffer
      - .actual_access:  write_only
        .address_space:  global
        .offset:         104
        .size:           8
        .value_kind:     global_buffer
    .group_segment_fixed_size: 0
    .kernarg_segment_align: 8
    .kernarg_segment_size: 112
    .language:       OpenCL C
    .language_version:
      - 2
      - 0
    .max_flat_workgroup_size: 121
    .name:           fft_rtc_back_len121_factors_11_11_wgs_121_tpt_11_half_op_CI_CI_sbcc_twdbase5_3step
    .private_segment_fixed_size: 0
    .sgpr_count:     61
    .sgpr_spill_count: 0
    .symbol:         fft_rtc_back_len121_factors_11_11_wgs_121_tpt_11_half_op_CI_CI_sbcc_twdbase5_3step.kd
    .uniform_work_group_size: 1
    .uses_dynamic_stack: false
    .vgpr_count:     82
    .vgpr_spill_count: 0
    .wavefront_size: 32
    .workgroup_processor_mode: 1
amdhsa.target:   amdgcn-amd-amdhsa--gfx1201
amdhsa.version:
  - 1
  - 2
...

	.end_amdgpu_metadata
